;; amdgpu-corpus repo=ROCm/rocFFT kind=compiled arch=gfx1100 opt=O3
	.text
	.amdgcn_target "amdgcn-amd-amdhsa--gfx1100"
	.amdhsa_code_object_version 6
	.protected	fft_rtc_back_len1156_factors_17_2_17_2_wgs_204_tpt_68_halfLds_dp_ip_CI_unitstride_sbrr_dirReg ; -- Begin function fft_rtc_back_len1156_factors_17_2_17_2_wgs_204_tpt_68_halfLds_dp_ip_CI_unitstride_sbrr_dirReg
	.globl	fft_rtc_back_len1156_factors_17_2_17_2_wgs_204_tpt_68_halfLds_dp_ip_CI_unitstride_sbrr_dirReg
	.p2align	8
	.type	fft_rtc_back_len1156_factors_17_2_17_2_wgs_204_tpt_68_halfLds_dp_ip_CI_unitstride_sbrr_dirReg,@function
fft_rtc_back_len1156_factors_17_2_17_2_wgs_204_tpt_68_halfLds_dp_ip_CI_unitstride_sbrr_dirReg: ; @fft_rtc_back_len1156_factors_17_2_17_2_wgs_204_tpt_68_halfLds_dp_ip_CI_unitstride_sbrr_dirReg
; %bb.0:
	s_load_b128 s[4:7], s[0:1], 0x0
	v_mul_u32_u24_e32 v1, 0x3c4, v0
	s_clause 0x1
	s_load_b64 s[8:9], s[0:1], 0x50
	s_load_b64 s[10:11], s[0:1], 0x18
	s_delay_alu instid0(VALU_DEP_1) | instskip(SKIP_1) | instid1(VALU_DEP_2)
	v_lshrrev_b32_e32 v2, 16, v1
	v_mov_b32_e32 v1, 0
	v_mad_u64_u32 v[68:69], null, s15, 3, v[2:3]
	v_mov_b32_e32 v3, 0
	s_delay_alu instid0(VALU_DEP_3) | instskip(NEXT) | instid1(VALU_DEP_1)
	v_dual_mov_b32 v4, 0 :: v_dual_mov_b32 v69, v1
	v_dual_mov_b32 v7, v68 :: v_dual_mov_b32 v8, v69
	s_waitcnt lgkmcnt(0)
	v_cmp_lt_u64_e64 s2, s[6:7], 2
	s_delay_alu instid0(VALU_DEP_1)
	s_and_b32 vcc_lo, exec_lo, s2
	s_cbranch_vccnz .LBB0_8
; %bb.1:
	s_load_b64 s[2:3], s[0:1], 0x10
	v_mov_b32_e32 v3, 0
	v_dual_mov_b32 v4, 0 :: v_dual_mov_b32 v5, v68
	s_add_u32 s12, s10, 8
	v_mov_b32_e32 v6, v69
	s_addc_u32 s13, s11, 0
	s_mov_b64 s[16:17], 1
	s_waitcnt lgkmcnt(0)
	s_add_u32 s14, s2, 8
	s_addc_u32 s15, s3, 0
.LBB0_2:                                ; =>This Inner Loop Header: Depth=1
	s_load_b64 s[18:19], s[14:15], 0x0
                                        ; implicit-def: $vgpr7_vgpr8
	s_mov_b32 s2, exec_lo
	s_waitcnt lgkmcnt(0)
	v_or_b32_e32 v2, s19, v6
	s_delay_alu instid0(VALU_DEP_1)
	v_cmpx_ne_u64_e32 0, v[1:2]
	s_xor_b32 s3, exec_lo, s2
	s_cbranch_execz .LBB0_4
; %bb.3:                                ;   in Loop: Header=BB0_2 Depth=1
	v_cvt_f32_u32_e32 v2, s18
	v_cvt_f32_u32_e32 v7, s19
	s_sub_u32 s2, 0, s18
	s_subb_u32 s20, 0, s19
	s_delay_alu instid0(VALU_DEP_1) | instskip(NEXT) | instid1(VALU_DEP_1)
	v_fmac_f32_e32 v2, 0x4f800000, v7
	v_rcp_f32_e32 v2, v2
	s_waitcnt_depctr 0xfff
	v_mul_f32_e32 v2, 0x5f7ffffc, v2
	s_delay_alu instid0(VALU_DEP_1) | instskip(NEXT) | instid1(VALU_DEP_1)
	v_mul_f32_e32 v7, 0x2f800000, v2
	v_trunc_f32_e32 v7, v7
	s_delay_alu instid0(VALU_DEP_1) | instskip(SKIP_1) | instid1(VALU_DEP_2)
	v_fmac_f32_e32 v2, 0xcf800000, v7
	v_cvt_u32_f32_e32 v7, v7
	v_cvt_u32_f32_e32 v2, v2
	s_delay_alu instid0(VALU_DEP_2) | instskip(NEXT) | instid1(VALU_DEP_2)
	v_mul_lo_u32 v8, s2, v7
	v_mul_hi_u32 v9, s2, v2
	v_mul_lo_u32 v10, s20, v2
	s_delay_alu instid0(VALU_DEP_2) | instskip(SKIP_1) | instid1(VALU_DEP_2)
	v_add_nc_u32_e32 v8, v9, v8
	v_mul_lo_u32 v9, s2, v2
	v_add_nc_u32_e32 v8, v8, v10
	s_delay_alu instid0(VALU_DEP_2) | instskip(NEXT) | instid1(VALU_DEP_2)
	v_mul_hi_u32 v10, v2, v9
	v_mul_lo_u32 v11, v2, v8
	v_mul_hi_u32 v12, v2, v8
	v_mul_hi_u32 v13, v7, v9
	v_mul_lo_u32 v9, v7, v9
	v_mul_hi_u32 v14, v7, v8
	v_mul_lo_u32 v8, v7, v8
	v_add_co_u32 v10, vcc_lo, v10, v11
	v_add_co_ci_u32_e32 v11, vcc_lo, 0, v12, vcc_lo
	s_delay_alu instid0(VALU_DEP_2) | instskip(NEXT) | instid1(VALU_DEP_2)
	v_add_co_u32 v9, vcc_lo, v10, v9
	v_add_co_ci_u32_e32 v9, vcc_lo, v11, v13, vcc_lo
	v_add_co_ci_u32_e32 v10, vcc_lo, 0, v14, vcc_lo
	s_delay_alu instid0(VALU_DEP_2) | instskip(NEXT) | instid1(VALU_DEP_2)
	v_add_co_u32 v8, vcc_lo, v9, v8
	v_add_co_ci_u32_e32 v9, vcc_lo, 0, v10, vcc_lo
	s_delay_alu instid0(VALU_DEP_2) | instskip(NEXT) | instid1(VALU_DEP_2)
	v_add_co_u32 v2, vcc_lo, v2, v8
	v_add_co_ci_u32_e32 v7, vcc_lo, v7, v9, vcc_lo
	s_delay_alu instid0(VALU_DEP_2) | instskip(SKIP_1) | instid1(VALU_DEP_3)
	v_mul_hi_u32 v8, s2, v2
	v_mul_lo_u32 v10, s20, v2
	v_mul_lo_u32 v9, s2, v7
	s_delay_alu instid0(VALU_DEP_1) | instskip(SKIP_1) | instid1(VALU_DEP_2)
	v_add_nc_u32_e32 v8, v8, v9
	v_mul_lo_u32 v9, s2, v2
	v_add_nc_u32_e32 v8, v8, v10
	s_delay_alu instid0(VALU_DEP_2) | instskip(NEXT) | instid1(VALU_DEP_2)
	v_mul_hi_u32 v10, v2, v9
	v_mul_lo_u32 v11, v2, v8
	v_mul_hi_u32 v12, v2, v8
	v_mul_hi_u32 v13, v7, v9
	v_mul_lo_u32 v9, v7, v9
	v_mul_hi_u32 v14, v7, v8
	v_mul_lo_u32 v8, v7, v8
	v_add_co_u32 v10, vcc_lo, v10, v11
	v_add_co_ci_u32_e32 v11, vcc_lo, 0, v12, vcc_lo
	s_delay_alu instid0(VALU_DEP_2) | instskip(NEXT) | instid1(VALU_DEP_2)
	v_add_co_u32 v9, vcc_lo, v10, v9
	v_add_co_ci_u32_e32 v9, vcc_lo, v11, v13, vcc_lo
	v_add_co_ci_u32_e32 v10, vcc_lo, 0, v14, vcc_lo
	s_delay_alu instid0(VALU_DEP_2) | instskip(NEXT) | instid1(VALU_DEP_2)
	v_add_co_u32 v8, vcc_lo, v9, v8
	v_add_co_ci_u32_e32 v9, vcc_lo, 0, v10, vcc_lo
	s_delay_alu instid0(VALU_DEP_2) | instskip(NEXT) | instid1(VALU_DEP_2)
	v_add_co_u32 v2, vcc_lo, v2, v8
	v_add_co_ci_u32_e32 v13, vcc_lo, v7, v9, vcc_lo
	s_delay_alu instid0(VALU_DEP_2) | instskip(SKIP_1) | instid1(VALU_DEP_3)
	v_mul_hi_u32 v14, v5, v2
	v_mad_u64_u32 v[9:10], null, v6, v2, 0
	v_mad_u64_u32 v[7:8], null, v5, v13, 0
	;; [unrolled: 1-line block ×3, first 2 shown]
	s_delay_alu instid0(VALU_DEP_2) | instskip(NEXT) | instid1(VALU_DEP_3)
	v_add_co_u32 v2, vcc_lo, v14, v7
	v_add_co_ci_u32_e32 v7, vcc_lo, 0, v8, vcc_lo
	s_delay_alu instid0(VALU_DEP_2) | instskip(NEXT) | instid1(VALU_DEP_2)
	v_add_co_u32 v2, vcc_lo, v2, v9
	v_add_co_ci_u32_e32 v2, vcc_lo, v7, v10, vcc_lo
	v_add_co_ci_u32_e32 v7, vcc_lo, 0, v12, vcc_lo
	s_delay_alu instid0(VALU_DEP_2) | instskip(NEXT) | instid1(VALU_DEP_2)
	v_add_co_u32 v2, vcc_lo, v2, v11
	v_add_co_ci_u32_e32 v9, vcc_lo, 0, v7, vcc_lo
	s_delay_alu instid0(VALU_DEP_2) | instskip(SKIP_1) | instid1(VALU_DEP_3)
	v_mul_lo_u32 v10, s19, v2
	v_mad_u64_u32 v[7:8], null, s18, v2, 0
	v_mul_lo_u32 v11, s18, v9
	s_delay_alu instid0(VALU_DEP_2) | instskip(NEXT) | instid1(VALU_DEP_2)
	v_sub_co_u32 v7, vcc_lo, v5, v7
	v_add3_u32 v8, v8, v11, v10
	s_delay_alu instid0(VALU_DEP_1) | instskip(NEXT) | instid1(VALU_DEP_1)
	v_sub_nc_u32_e32 v10, v6, v8
	v_subrev_co_ci_u32_e64 v10, s2, s19, v10, vcc_lo
	v_add_co_u32 v11, s2, v2, 2
	s_delay_alu instid0(VALU_DEP_1) | instskip(SKIP_3) | instid1(VALU_DEP_3)
	v_add_co_ci_u32_e64 v12, s2, 0, v9, s2
	v_sub_co_u32 v13, s2, v7, s18
	v_sub_co_ci_u32_e32 v8, vcc_lo, v6, v8, vcc_lo
	v_subrev_co_ci_u32_e64 v10, s2, 0, v10, s2
	v_cmp_le_u32_e32 vcc_lo, s18, v13
	s_delay_alu instid0(VALU_DEP_3) | instskip(SKIP_1) | instid1(VALU_DEP_4)
	v_cmp_eq_u32_e64 s2, s19, v8
	v_cndmask_b32_e64 v13, 0, -1, vcc_lo
	v_cmp_le_u32_e32 vcc_lo, s19, v10
	v_cndmask_b32_e64 v14, 0, -1, vcc_lo
	v_cmp_le_u32_e32 vcc_lo, s18, v7
	;; [unrolled: 2-line block ×3, first 2 shown]
	v_cndmask_b32_e64 v15, 0, -1, vcc_lo
	v_cmp_eq_u32_e32 vcc_lo, s19, v10
	s_delay_alu instid0(VALU_DEP_2) | instskip(SKIP_3) | instid1(VALU_DEP_3)
	v_cndmask_b32_e64 v7, v15, v7, s2
	v_cndmask_b32_e32 v10, v14, v13, vcc_lo
	v_add_co_u32 v13, vcc_lo, v2, 1
	v_add_co_ci_u32_e32 v14, vcc_lo, 0, v9, vcc_lo
	v_cmp_ne_u32_e32 vcc_lo, 0, v10
	s_delay_alu instid0(VALU_DEP_2) | instskip(NEXT) | instid1(VALU_DEP_4)
	v_cndmask_b32_e32 v8, v14, v12, vcc_lo
	v_cndmask_b32_e32 v10, v13, v11, vcc_lo
	v_cmp_ne_u32_e32 vcc_lo, 0, v7
	s_delay_alu instid0(VALU_DEP_2)
	v_dual_cndmask_b32 v7, v2, v10 :: v_dual_cndmask_b32 v8, v9, v8
.LBB0_4:                                ;   in Loop: Header=BB0_2 Depth=1
	s_and_not1_saveexec_b32 s2, s3
	s_cbranch_execz .LBB0_6
; %bb.5:                                ;   in Loop: Header=BB0_2 Depth=1
	v_cvt_f32_u32_e32 v2, s18
	s_sub_i32 s3, 0, s18
	s_delay_alu instid0(VALU_DEP_1) | instskip(SKIP_2) | instid1(VALU_DEP_1)
	v_rcp_iflag_f32_e32 v2, v2
	s_waitcnt_depctr 0xfff
	v_mul_f32_e32 v2, 0x4f7ffffe, v2
	v_cvt_u32_f32_e32 v2, v2
	s_delay_alu instid0(VALU_DEP_1) | instskip(NEXT) | instid1(VALU_DEP_1)
	v_mul_lo_u32 v7, s3, v2
	v_mul_hi_u32 v7, v2, v7
	s_delay_alu instid0(VALU_DEP_1) | instskip(NEXT) | instid1(VALU_DEP_1)
	v_add_nc_u32_e32 v2, v2, v7
	v_mul_hi_u32 v2, v5, v2
	s_delay_alu instid0(VALU_DEP_1) | instskip(SKIP_1) | instid1(VALU_DEP_2)
	v_mul_lo_u32 v7, v2, s18
	v_add_nc_u32_e32 v8, 1, v2
	v_sub_nc_u32_e32 v7, v5, v7
	s_delay_alu instid0(VALU_DEP_1) | instskip(SKIP_1) | instid1(VALU_DEP_2)
	v_subrev_nc_u32_e32 v9, s18, v7
	v_cmp_le_u32_e32 vcc_lo, s18, v7
	v_dual_cndmask_b32 v7, v7, v9 :: v_dual_cndmask_b32 v2, v2, v8
	s_delay_alu instid0(VALU_DEP_1) | instskip(NEXT) | instid1(VALU_DEP_2)
	v_cmp_le_u32_e32 vcc_lo, s18, v7
	v_add_nc_u32_e32 v8, 1, v2
	s_delay_alu instid0(VALU_DEP_1)
	v_dual_cndmask_b32 v7, v2, v8 :: v_dual_mov_b32 v8, v1
.LBB0_6:                                ;   in Loop: Header=BB0_2 Depth=1
	s_or_b32 exec_lo, exec_lo, s2
	s_load_b64 s[2:3], s[12:13], 0x0
	s_delay_alu instid0(VALU_DEP_1) | instskip(NEXT) | instid1(VALU_DEP_2)
	v_mul_lo_u32 v2, v8, s18
	v_mul_lo_u32 v11, v7, s19
	v_mad_u64_u32 v[9:10], null, v7, s18, 0
	s_add_u32 s16, s16, 1
	s_addc_u32 s17, s17, 0
	s_add_u32 s12, s12, 8
	s_addc_u32 s13, s13, 0
	;; [unrolled: 2-line block ×3, first 2 shown]
	s_delay_alu instid0(VALU_DEP_1) | instskip(SKIP_1) | instid1(VALU_DEP_2)
	v_add3_u32 v2, v10, v11, v2
	v_sub_co_u32 v9, vcc_lo, v5, v9
	v_sub_co_ci_u32_e32 v2, vcc_lo, v6, v2, vcc_lo
	s_waitcnt lgkmcnt(0)
	s_delay_alu instid0(VALU_DEP_2) | instskip(NEXT) | instid1(VALU_DEP_2)
	v_mul_lo_u32 v10, s3, v9
	v_mul_lo_u32 v2, s2, v2
	v_mad_u64_u32 v[5:6], null, s2, v9, v[3:4]
	v_cmp_ge_u64_e64 s2, s[16:17], s[6:7]
	s_delay_alu instid0(VALU_DEP_1) | instskip(NEXT) | instid1(VALU_DEP_2)
	s_and_b32 vcc_lo, exec_lo, s2
	v_add3_u32 v4, v10, v6, v2
	s_delay_alu instid0(VALU_DEP_3)
	v_mov_b32_e32 v3, v5
	s_cbranch_vccnz .LBB0_8
; %bb.7:                                ;   in Loop: Header=BB0_2 Depth=1
	v_dual_mov_b32 v5, v7 :: v_dual_mov_b32 v6, v8
	s_branch .LBB0_2
.LBB0_8:
	s_lshl_b64 s[2:3], s[6:7], 3
                                        ; implicit-def: $vgpr10_vgpr11
                                        ; implicit-def: $vgpr14_vgpr15
                                        ; implicit-def: $vgpr26_vgpr27
                                        ; implicit-def: $vgpr22_vgpr23
                                        ; implicit-def: $vgpr30_vgpr31
                                        ; implicit-def: $vgpr34_vgpr35
                                        ; implicit-def: $vgpr38_vgpr39
                                        ; implicit-def: $vgpr42_vgpr43
                                        ; implicit-def: $vgpr46_vgpr47
                                        ; implicit-def: $vgpr62_vgpr63
                                        ; implicit-def: $vgpr66_vgpr67
                                        ; implicit-def: $vgpr58_vgpr59
                                        ; implicit-def: $vgpr54_vgpr55
                                        ; implicit-def: $vgpr50_vgpr51
                                        ; implicit-def: $vgpr18_vgpr19
	s_delay_alu instid0(SALU_CYCLE_1)
	s_add_u32 s2, s10, s2
	s_addc_u32 s3, s11, s3
	s_load_b64 s[2:3], s[2:3], 0x0
	s_load_b64 s[0:1], s[0:1], 0x20
	s_waitcnt lgkmcnt(0)
	v_mul_lo_u32 v5, s2, v8
	v_mul_lo_u32 v6, s3, v7
	v_mad_u64_u32 v[1:2], null, s2, v7, v[3:4]
	v_mul_hi_u32 v3, 0x3c3c3c4, v0
	v_cmp_gt_u64_e32 vcc_lo, s[0:1], v[7:8]
	s_delay_alu instid0(VALU_DEP_3) | instskip(NEXT) | instid1(VALU_DEP_3)
	v_add3_u32 v2, v6, v2, v5
                                        ; implicit-def: $vgpr6_vgpr7
	v_mul_u32_u24_e32 v3, 0x44, v3
	s_delay_alu instid0(VALU_DEP_2) | instskip(NEXT) | instid1(VALU_DEP_2)
	v_lshlrev_b64 v[96:97], 4, v[1:2]
	v_sub_nc_u32_e32 v98, v0, v3
                                        ; implicit-def: $vgpr2_vgpr3
	s_and_saveexec_b32 s1, vcc_lo
	s_cbranch_execz .LBB0_10
; %bb.9:
	v_mov_b32_e32 v99, 0
	s_delay_alu instid0(VALU_DEP_3) | instskip(NEXT) | instid1(VALU_DEP_1)
	v_add_co_u32 v2, s0, s8, v96
	v_add_co_ci_u32_e64 v3, s0, s9, v97, s0
	s_delay_alu instid0(VALU_DEP_3) | instskip(NEXT) | instid1(VALU_DEP_1)
	v_lshlrev_b64 v[0:1], 4, v[98:99]
	v_add_co_u32 v0, s0, v2, v0
	s_delay_alu instid0(VALU_DEP_1)
	v_add_co_ci_u32_e64 v1, s0, v3, v1, s0
	s_clause 0x3
	global_load_b128 v[16:19], v[0:1], off
	global_load_b128 v[48:51], v[0:1], off offset:1088
	global_load_b128 v[52:55], v[0:1], off offset:2176
	;; [unrolled: 1-line block ×3, first 2 shown]
	v_add_co_u32 v2, s0, 0x1000, v0
	s_delay_alu instid0(VALU_DEP_1) | instskip(SKIP_1) | instid1(VALU_DEP_1)
	v_add_co_ci_u32_e64 v3, s0, 0, v1, s0
	v_add_co_u32 v4, s0, 0x2000, v0
	v_add_co_ci_u32_e64 v5, s0, 0, v1, s0
	s_clause 0x7
	global_load_b128 v[64:67], v[2:3], off offset:256
	global_load_b128 v[60:63], v[2:3], off offset:1344
	;; [unrolled: 1-line block ×8, first 2 shown]
	v_add_co_u32 v2, s0, 0x3000, v0
	s_delay_alu instid0(VALU_DEP_1) | instskip(SKIP_1) | instid1(VALU_DEP_1)
	v_add_co_ci_u32_e64 v3, s0, 0, v1, s0
	v_add_co_u32 v0, s0, 0x4000, v0
	v_add_co_ci_u32_e64 v1, s0, 0, v1, s0
	s_clause 0x4
	global_load_b128 v[24:27], v[2:3], off offset:768
	global_load_b128 v[12:15], v[2:3], off offset:1856
	;; [unrolled: 1-line block ×5, first 2 shown]
.LBB0_10:
	s_or_b32 exec_lo, exec_lo, s1
	s_waitcnt vmcnt(15)
	v_add_f64 v[69:70], v[48:49], v[16:17]
	s_waitcnt vmcnt(0)
	v_add_f64 v[71:72], v[50:51], -v[2:3]
	s_mov_b32 s40, 0xeb564b22
	s_mov_b32 s22, 0x923c349f
	;; [unrolled: 1-line block ×9, first 2 shown]
	v_add_f64 v[73:74], v[0:1], v[48:49]
	v_add_f64 v[75:76], v[54:55], -v[6:7]
	s_mov_b32 s37, 0xbfc7851a
	s_mov_b32 s50, 0x7c9e640b
	s_mov_b32 s46, 0x2a9d6da3
	s_mov_b32 s42, 0x5d8e7cdc
	s_mov_b32 s51, 0xbfeca52d
	s_mov_b32 s47, 0xbfe58eea
	s_mov_b32 s43, 0xbfd71e95
	s_mov_b32 s2, 0x3259b75e
	s_mov_b32 s6, 0xc61f0d01
	s_mov_b32 s3, 0x3fb79ee6
	s_mov_b32 s7, 0xbfd183b1
	s_mov_b32 s53, 0x3fe0d888
	s_mov_b32 s14, 0x910ea3b9
	s_mov_b32 s10, 0x6ed5f1bb
	s_mov_b32 s49, 0x3feec746
	s_mov_b32 s27, 0x3feca52d
	s_mov_b32 s39, 0x3fd71e95
	s_mov_b32 s52, s34
	s_mov_b32 s48, s22
	s_mov_b32 s26, s50
	s_mov_b32 s38, s42
	s_mov_b32 s16, 0x7faef3
	s_mov_b32 s15, 0xbfeb34fa
	s_mov_b32 s11, 0xbfe348c8
	v_add_f64 v[77:78], v[4:5], v[52:53]
	v_add_f64 v[69:70], v[52:53], v[69:70]
	v_mul_f64 v[107:108], v[71:72], s[40:41]
	v_mul_f64 v[109:110], v[71:72], s[22:23]
	;; [unrolled: 1-line block ×8, first 2 shown]
	s_mov_b32 s17, 0xbfef7484
	v_add_f64 v[79:80], v[58:59], -v[10:11]
	s_mov_b32 s12, 0x2b2883cd
	v_mul_f64 v[119:120], v[75:76], s[36:37]
	v_mul_f64 v[123:124], v[75:76], s[52:53]
	;; [unrolled: 1-line block ×8, first 2 shown]
	s_mov_b32 s18, 0x75d4884
	s_mov_b32 s20, 0x370991
	;; [unrolled: 1-line block ×9, first 2 shown]
	v_add_f64 v[81:82], v[8:9], v[56:57]
	v_add_f64 v[83:84], v[66:67], -v[14:15]
	s_mov_b32 s45, 0x3fe9895b
	s_mov_b32 s44, s28
	v_add_f64 v[85:86], v[12:13], v[64:65]
	v_add_f64 v[87:88], v[62:63], -v[26:27]
	s_mov_b32 s25, 0x3fefdd0d
	s_mov_b32 s24, s40
	v_add_f64 v[89:90], v[24:25], v[60:61]
	v_add_f64 v[69:70], v[56:57], v[69:70]
	v_fma_f64 v[171:172], v[73:74], s[2:3], v[107:108]
	v_fma_f64 v[173:174], v[73:74], s[6:7], v[109:110]
	;; [unrolled: 1-line block ×4, first 2 shown]
	v_fma_f64 v[111:112], v[73:74], s[10:11], -v[111:112]
	v_fma_f64 v[179:180], v[73:74], s[16:17], v[115:116]
	v_fma_f64 v[115:116], v[73:74], s[16:17], -v[115:116]
	v_fma_f64 v[113:114], v[73:74], s[14:15], -v[113:114]
	;; [unrolled: 1-line block ×4, first 2 shown]
	v_fma_f64 v[181:182], v[73:74], s[20:21], v[117:118]
	v_fma_f64 v[183:184], v[73:74], s[18:19], -v[121:122]
	v_fma_f64 v[185:186], v[73:74], s[12:13], -v[71:72]
	;; [unrolled: 1-line block ×3, first 2 shown]
	v_fma_f64 v[121:122], v[73:74], s[18:19], v[121:122]
	v_fma_f64 v[71:72], v[73:74], s[12:13], v[71:72]
	v_mul_f64 v[129:130], v[79:80], s[48:49]
	v_mul_f64 v[131:132], v[79:80], s[30:31]
	;; [unrolled: 1-line block ×8, first 2 shown]
	v_fma_f64 v[193:194], v[77:78], s[16:17], v[119:120]
	v_fma_f64 v[195:196], v[77:78], s[14:15], v[123:124]
	;; [unrolled: 1-line block ×4, first 2 shown]
	v_fma_f64 v[125:126], v[77:78], s[6:7], -v[125:126]
	v_fma_f64 v[127:128], v[77:78], s[12:13], -v[127:128]
	v_fma_f64 v[201:202], v[77:78], s[20:21], v[153:154]
	v_fma_f64 v[153:154], v[77:78], s[20:21], -v[153:154]
	v_fma_f64 v[203:204], v[77:78], s[18:19], v[157:158]
	;; [unrolled: 2-line block ×4, first 2 shown]
	v_add_f64 v[69:70], v[64:65], v[69:70]
	v_fma_f64 v[75:76], v[77:78], s[10:11], -v[75:76]
	v_fma_f64 v[119:120], v[77:78], s[16:17], -v[119:120]
	;; [unrolled: 1-line block ×3, first 2 shown]
	v_add_f64 v[123:124], v[16:17], v[171:172]
	v_add_f64 v[171:172], v[16:17], v[173:174]
	;; [unrolled: 1-line block ×16, first 2 shown]
	v_mul_f64 v[137:138], v[83:84], s[38:39]
	v_mul_f64 v[139:140], v[83:84], s[50:51]
	v_fma_f64 v[213:214], v[81:82], s[6:7], v[129:130]
	v_fma_f64 v[215:216], v[81:82], s[18:19], v[131:132]
	;; [unrolled: 1-line block ×4, first 2 shown]
	v_fma_f64 v[133:134], v[81:82], s[20:21], -v[133:134]
	v_fma_f64 v[135:136], v[81:82], s[2:3], -v[135:136]
	v_fma_f64 v[221:222], v[81:82], s[14:15], v[187:188]
	v_fma_f64 v[187:188], v[81:82], s[14:15], -v[187:188]
	v_fma_f64 v[223:224], v[81:82], s[12:13], v[189:190]
	;; [unrolled: 2-line block ×4, first 2 shown]
	v_fma_f64 v[79:80], v[81:82], s[16:17], -v[79:80]
	v_fma_f64 v[129:130], v[81:82], s[6:7], -v[129:130]
	;; [unrolled: 1-line block ×3, first 2 shown]
	v_add_f64 v[69:70], v[60:61], v[69:70]
	v_mul_f64 v[141:142], v[83:84], s[34:35]
	v_mul_f64 v[143:144], v[83:84], s[44:45]
	;; [unrolled: 1-line block ×3, first 2 shown]
	v_add_f64 v[123:124], v[193:194], v[123:124]
	v_add_f64 v[131:132], v[195:196], v[171:172]
	v_mul_f64 v[209:210], v[83:84], s[40:41]
	v_mul_f64 v[211:212], v[83:84], s[36:37]
	;; [unrolled: 1-line block ×3, first 2 shown]
	v_add_f64 v[171:172], v[197:198], v[173:174]
	v_add_f64 v[173:174], v[199:200], v[175:176]
	;; [unrolled: 1-line block ×14, first 2 shown]
	v_add_f64 v[91:92], v[46:47], -v[22:23]
	v_mul_f64 v[145:146], v[87:88], s[50:51]
	v_mul_f64 v[147:148], v[87:88], s[36:37]
	v_fma_f64 v[175:176], v[85:86], s[20:21], v[137:138]
	v_fma_f64 v[177:178], v[85:86], s[12:13], v[139:140]
	v_mul_f64 v[149:150], v[87:88], s[24:25]
	v_mul_f64 v[151:152], v[87:88], s[42:43]
	;; [unrolled: 1-line block ×6, first 2 shown]
	v_fma_f64 v[137:138], v[85:86], s[20:21], -v[137:138]
	v_add_f64 v[93:94], v[20:21], v[44:45]
	v_add_f64 v[99:100], v[42:43], -v[30:31]
	v_add_f64 v[101:102], v[28:29], v[40:41]
	v_add_f64 v[69:70], v[44:45], v[69:70]
	v_fma_f64 v[179:180], v[85:86], s[14:15], v[141:142]
	v_fma_f64 v[181:182], v[85:86], s[10:11], v[143:144]
	v_fma_f64 v[141:142], v[85:86], s[14:15], -v[141:142]
	v_add_f64 v[123:124], v[213:214], v[123:124]
	v_add_f64 v[131:132], v[215:216], v[131:132]
	v_fma_f64 v[143:144], v[85:86], s[10:11], -v[143:144]
	v_fma_f64 v[183:184], v[85:86], s[18:19], v[185:186]
	v_fma_f64 v[185:186], v[85:86], s[18:19], -v[185:186]
	v_fma_f64 v[193:194], v[85:86], s[2:3], v[209:210]
	;; [unrolled: 2-line block ×4, first 2 shown]
	v_fma_f64 v[83:84], v[85:86], s[6:7], -v[83:84]
	v_fma_f64 v[85:86], v[85:86], s[12:13], -v[139:140]
	v_add_f64 v[139:140], v[217:218], v[171:172]
	v_add_f64 v[171:172], v[219:220], v[173:174]
	;; [unrolled: 1-line block ×14, first 2 shown]
	v_mul_f64 v[155:156], v[91:92], s[34:35]
	v_mul_f64 v[159:160], v[91:92], s[24:25]
	v_fma_f64 v[153:154], v[89:90], s[12:13], v[145:146]
	v_fma_f64 v[173:174], v[89:90], s[16:17], v[147:148]
	v_mul_f64 v[163:164], v[91:92], s[46:47]
	v_mul_f64 v[165:166], v[91:92], s[36:37]
	v_fma_f64 v[187:188], v[89:90], s[2:3], v[149:150]
	v_fma_f64 v[189:190], v[89:90], s[20:21], v[151:152]
	v_add_f64 v[69:70], v[40:41], v[69:70]
	v_fma_f64 v[149:150], v[89:90], s[2:3], -v[149:150]
	v_fma_f64 v[151:152], v[89:90], s[20:21], -v[151:152]
	v_fma_f64 v[191:192], v[89:90], s[10:11], v[121:122]
	v_add_f64 v[123:124], v[175:176], v[123:124]
	v_add_f64 v[131:132], v[177:178], v[131:132]
	v_fma_f64 v[121:122], v[89:90], s[10:11], -v[121:122]
	v_fma_f64 v[203:204], v[89:90], s[6:7], v[157:158]
	v_fma_f64 v[157:158], v[89:90], s[6:7], -v[157:158]
	v_fma_f64 v[205:206], v[89:90], s[14:15], v[161:162]
	;; [unrolled: 2-line block ×3, first 2 shown]
	v_fma_f64 v[87:88], v[89:90], s[18:19], -v[87:88]
	v_fma_f64 v[145:146], v[89:90], s[12:13], -v[145:146]
	v_fma_f64 v[89:90], v[89:90], s[16:17], -v[147:148]
	v_mul_f64 v[109:110], v[91:92], s[26:27]
	v_add_f64 v[139:140], v[179:180], v[139:140]
	v_add_f64 v[147:148], v[181:182], v[171:172]
	;; [unrolled: 1-line block ×6, first 2 shown]
	v_mul_f64 v[129:130], v[91:92], s[28:29]
	v_mul_f64 v[135:136], v[91:92], s[48:49]
	;; [unrolled: 1-line block ×3, first 2 shown]
	v_add_f64 v[107:108], v[137:138], v[107:108]
	v_add_f64 v[77:78], v[85:86], v[77:78]
	;; [unrolled: 1-line block ×8, first 2 shown]
	v_add_f64 v[103:104], v[38:39], -v[34:35]
	v_mul_f64 v[167:168], v[99:100], s[44:45]
	v_mul_f64 v[169:170], v[99:100], s[42:43]
	v_fma_f64 v[143:144], v[93:94], s[14:15], v[155:156]
	v_fma_f64 v[171:172], v[93:94], s[2:3], v[159:160]
	v_add_f64 v[69:70], v[36:37], v[69:70]
	v_mul_f64 v[73:74], v[99:100], s[36:37]
	v_mul_f64 v[71:72], v[99:100], s[30:31]
	v_fma_f64 v[175:176], v[93:94], s[18:19], v[163:164]
	v_add_f64 v[123:124], v[153:154], v[123:124]
	v_add_f64 v[131:132], v[173:174], v[131:132]
	v_fma_f64 v[177:178], v[93:94], s[16:17], v[165:166]
	v_mul_f64 v[85:86], v[99:100], s[22:23]
	v_fma_f64 v[163:164], v[93:94], s[18:19], -v[163:164]
	v_fma_f64 v[165:166], v[93:94], s[16:17], -v[165:166]
	v_mul_f64 v[137:138], v[99:100], s[34:35]
	v_mul_f64 v[141:142], v[99:100], s[26:27]
	;; [unrolled: 1-line block ×3, first 2 shown]
	v_fma_f64 v[155:156], v[93:94], s[14:15], -v[155:156]
	v_add_f64 v[105:106], v[32:33], v[36:37]
	v_fma_f64 v[179:180], v[93:94], s[12:13], v[109:110]
	v_add_f64 v[139:140], v[187:188], v[139:140]
	v_add_f64 v[147:148], v[189:190], v[147:148]
	v_fma_f64 v[109:110], v[93:94], s[12:13], -v[109:110]
	v_add_f64 v[111:112], v[149:150], v[111:112]
	v_add_f64 v[125:126], v[191:192], v[125:126]
	;; [unrolled: 1-line block ×4, first 2 shown]
	v_fma_f64 v[181:182], v[93:94], s[10:11], v[129:130]
	v_fma_f64 v[129:130], v[93:94], s[10:11], -v[129:130]
	v_fma_f64 v[183:184], v[93:94], s[6:7], v[135:136]
	v_fma_f64 v[135:136], v[93:94], s[6:7], -v[135:136]
	;; [unrolled: 2-line block ×3, first 2 shown]
	v_fma_f64 v[93:94], v[93:94], s[2:3], -v[159:160]
	v_add_f64 v[107:108], v[145:146], v[107:108]
	v_add_f64 v[77:78], v[89:90], v[77:78]
	;; [unrolled: 1-line block ×9, first 2 shown]
	v_mul_f64 v[119:120], v[103:104], s[30:31]
	v_mul_f64 v[81:82], v[103:104], s[28:29]
	;; [unrolled: 1-line block ×8, first 2 shown]
	v_fma_f64 v[149:150], v[101:102], s[10:11], v[167:168]
	v_fma_f64 v[151:152], v[101:102], s[20:21], v[169:170]
	v_add_f64 v[123:124], v[143:144], v[123:124]
	v_add_f64 v[131:132], v[171:172], v[131:132]
	v_fma_f64 v[153:154], v[101:102], s[16:17], v[73:74]
	v_fma_f64 v[157:158], v[101:102], s[18:19], v[71:72]
	v_fma_f64 v[73:74], v[101:102], s[16:17], -v[73:74]
	v_add_f64 v[139:140], v[175:176], v[139:140]
	v_add_f64 v[143:144], v[177:178], v[147:148]
	v_fma_f64 v[159:160], v[101:102], s[6:7], v[85:86]
	v_fma_f64 v[85:86], v[101:102], s[6:7], -v[85:86]
	v_add_f64 v[111:112], v[163:164], v[111:112]
	v_add_f64 v[125:126], v[179:180], v[125:126]
	;; [unrolled: 1-line block ×3, first 2 shown]
	v_fma_f64 v[71:72], v[101:102], s[18:19], -v[71:72]
	v_add_f64 v[113:114], v[165:166], v[113:114]
	v_fma_f64 v[161:162], v[101:102], s[14:15], v[137:138]
	v_fma_f64 v[137:138], v[101:102], s[14:15], -v[137:138]
	v_fma_f64 v[173:174], v[101:102], s[12:13], v[141:142]
	v_fma_f64 v[141:142], v[101:102], s[12:13], -v[141:142]
	;; [unrolled: 2-line block ×3, first 2 shown]
	v_fma_f64 v[167:168], v[101:102], s[10:11], -v[167:168]
	v_fma_f64 v[101:102], v[101:102], s[20:21], -v[169:170]
	v_add_f64 v[107:108], v[155:156], v[107:108]
	v_add_f64 v[77:78], v[93:94], v[77:78]
	;; [unrolled: 1-line block ×9, first 2 shown]
	v_fma_f64 v[91:92], v[105:106], s[18:19], v[119:120]
	v_fma_f64 v[93:94], v[105:106], s[10:11], v[81:82]
	;; [unrolled: 1-line block ×4, first 2 shown]
	v_fma_f64 v[83:84], v[105:106], s[12:13], -v[83:84]
	v_fma_f64 v[135:136], v[105:106], s[2:3], v[89:90]
	v_fma_f64 v[89:90], v[105:106], s[2:3], -v[89:90]
	v_fma_f64 v[87:88], v[105:106], s[6:7], -v[87:88]
	v_fma_f64 v[147:148], v[105:106], s[16:17], v[133:134]
	v_fma_f64 v[133:134], v[105:106], s[16:17], -v[133:134]
	v_fma_f64 v[155:156], v[105:106], s[20:21], v[145:146]
	;; [unrolled: 2-line block ×3, first 2 shown]
	v_fma_f64 v[103:104], v[105:106], s[14:15], -v[103:104]
	v_fma_f64 v[119:120], v[105:106], s[18:19], -v[119:120]
	;; [unrolled: 1-line block ×3, first 2 shown]
	v_add_f64 v[105:106], v[149:150], v[123:124]
	v_add_f64 v[123:124], v[151:152], v[131:132]
	;; [unrolled: 1-line block ×8, first 2 shown]
	v_mul_hi_u32 v95, 0xaaaaaaab, v68
	v_cmp_gt_u32_e64 s0, 34, v98
	v_add_f64 v[107:108], v[167:168], v[107:108]
	v_add_f64 v[77:78], v[101:102], v[77:78]
	;; [unrolled: 1-line block ×9, first 2 shown]
	v_lshrrev_b32_e32 v95, 1, v95
	s_delay_alu instid0(VALU_DEP_1)
	v_lshl_add_u32 v95, v95, 1, v95
	v_add_f64 v[91:92], v[91:92], v[105:106]
	v_add_f64 v[93:94], v[93:94], v[123:124]
	;; [unrolled: 1-line block ×17, first 2 shown]
	v_sub_nc_u32_e32 v16, v68, v95
	v_lshlrev_b32_e32 v17, 3, v98
	s_delay_alu instid0(VALU_DEP_2) | instskip(NEXT) | instid1(VALU_DEP_1)
	v_mul_u32_u24_e32 v16, 0x484, v16
	v_lshlrev_b32_e32 v119, 3, v16
	s_delay_alu instid0(VALU_DEP_1) | instskip(NEXT) | instid1(VALU_DEP_4)
	v_add_nc_u32_e32 v68, 0, v119
	v_add3_u32 v117, 0, v17, v119
	s_delay_alu instid0(VALU_DEP_2) | instskip(NEXT) | instid1(VALU_DEP_2)
	v_mad_u32_u24 v16, 0x88, v98, v68
	v_add_nc_u32_e32 v112, 0xc00, v117
	v_add_nc_u32_e32 v118, v68, v17
	;; [unrolled: 1-line block ×6, first 2 shown]
	v_add_f64 v[69:70], v[12:13], v[69:70]
	s_delay_alu instid0(VALU_DEP_1) | instskip(NEXT) | instid1(VALU_DEP_1)
	v_add_f64 v[69:70], v[8:9], v[69:70]
	v_add_f64 v[69:70], v[4:5], v[69:70]
	s_delay_alu instid0(VALU_DEP_1)
	v_add_f64 v[69:70], v[0:1], v[69:70]
	ds_store_2addr_b64 v16, v[91:92], v[93:94] offset0:4 offset1:5
	ds_store_2addr_b64 v16, v[105:106], v[121:122] offset0:6 offset1:7
	;; [unrolled: 1-line block ×6, first 2 shown]
	ds_store_b64 v16, v[101:102] offset:128
	ds_store_2addr_b64 v16, v[69:70], v[87:88] offset1:1
	ds_store_2addr_b64 v16, v[79:80], v[81:82] offset0:2 offset1:3
	s_waitcnt lgkmcnt(0)
	s_barrier
	buffer_gl0_inv
	ds_load_2addr_b64 v[76:79], v112 offset0:92 offset1:194
	ds_load_b64 v[107:108], v118
	ds_load_b64 v[103:104], v117 offset:8432
	ds_load_2addr_b64 v[84:87], v117 offset0:68 offset1:136
	ds_load_2addr_b64 v[80:83], v17 offset0:134 offset1:202
	;; [unrolled: 1-line block ×6, first 2 shown]
                                        ; implicit-def: $vgpr105_vgpr106
	s_and_saveexec_b32 s1, s0
	s_cbranch_execz .LBB0_12
; %bb.11:
	ds_load_b64 v[101:102], v117 offset:4352
	ds_load_b64 v[105:106], v117 offset:8976
.LBB0_12:
	s_or_b32 exec_lo, exec_lo, s1
	v_add_f64 v[109:110], v[50:51], v[18:19]
	v_add_f64 v[0:1], v[48:49], -v[0:1]
	v_add_f64 v[4:5], v[52:53], -v[4:5]
	;; [unrolled: 1-line block ×3, first 2 shown]
	v_add_f64 v[50:51], v[2:3], v[50:51]
	v_add_f64 v[52:53], v[6:7], v[54:55]
	;; [unrolled: 1-line block ×3, first 2 shown]
	v_add_f64 v[24:25], v[60:61], -v[24:25]
	v_add_f64 v[28:29], v[40:41], -v[28:29]
	v_add_f64 v[32:33], v[36:37], -v[32:33]
	v_add_f64 v[20:21], v[44:45], -v[20:21]
	v_add_f64 v[44:45], v[30:31], v[42:43]
	v_add_f64 v[12:13], v[64:65], -v[12:13]
	v_add_f64 v[64:65], v[34:35], v[38:39]
	s_waitcnt lgkmcnt(0)
	s_barrier
	buffer_gl0_inv
	v_add_f64 v[109:110], v[54:55], v[109:110]
	v_add_f64 v[54:55], v[10:11], v[58:59]
	v_mul_f64 v[60:61], v[0:1], s[42:43]
	v_mul_f64 v[40:41], v[0:1], s[46:47]
	;; [unrolled: 1-line block ×32, first 2 shown]
	v_add_f64 v[109:110], v[58:59], v[109:110]
	v_add_f64 v[58:59], v[26:27], v[62:63]
	v_fma_f64 v[162:163], v[50:51], s[20:21], -v[60:61]
	v_fma_f64 v[60:61], v[50:51], s[20:21], v[60:61]
	v_fma_f64 v[164:165], v[50:51], s[18:19], v[40:41]
	v_fma_f64 v[172:173], v[50:51], s[14:15], -v[36:37]
	v_fma_f64 v[174:175], v[50:51], s[16:17], -v[113:114]
	v_fma_f64 v[113:114], v[50:51], s[16:17], v[113:114]
	v_fma_f64 v[36:37], v[50:51], s[14:15], v[36:37]
	v_fma_f64 v[40:41], v[50:51], s[18:19], -v[40:41]
	v_fma_f64 v[184:185], v[52:53], s[18:19], -v[115:116]
	v_fma_f64 v[115:116], v[52:53], s[18:19], v[115:116]
	v_fma_f64 v[186:187], v[52:53], s[2:3], -v[120:121]
	v_fma_f64 v[120:121], v[52:53], s[2:3], v[120:121]
	;; [unrolled: 2-line block ×14, first 2 shown]
	v_add_f64 v[109:110], v[66:67], v[109:110]
	v_mul_f64 v[66:67], v[0:1], s[22:23]
	v_add_f64 v[60:61], v[18:19], v[60:61]
	v_add_f64 v[113:114], v[18:19], v[113:114]
	;; [unrolled: 1-line block ×5, first 2 shown]
	v_mul_f64 v[62:63], v[0:1], s[40:41]
	v_fma_f64 v[168:169], v[50:51], s[6:7], -v[66:67]
	v_fma_f64 v[66:67], v[50:51], s[6:7], v[66:67]
	v_add_f64 v[54:55], v[115:116], v[60:61]
	v_add_f64 v[36:37], v[128:129], v[36:37]
	;; [unrolled: 1-line block ×3, first 2 shown]
	v_fma_f64 v[186:187], v[56:57], s[18:19], -v[12:13]
	v_fma_f64 v[12:13], v[56:57], s[18:19], v[12:13]
	v_mul_f64 v[128:129], v[28:29], s[34:35]
	v_add_f64 v[48:49], v[46:47], v[109:110]
	v_mul_f64 v[109:110], v[0:1], s[28:29]
	v_mul_f64 v[0:1], v[0:1], s[50:51]
	v_fma_f64 v[166:167], v[50:51], s[2:3], -v[62:63]
	v_fma_f64 v[62:63], v[50:51], s[2:3], v[62:63]
	v_add_f64 v[66:67], v[18:19], v[66:67]
	v_add_f64 v[54:55], v[130:131], v[54:55]
	;; [unrolled: 1-line block ×3, first 2 shown]
	v_mul_f64 v[130:131], v[28:29], s[44:45]
	v_add_f64 v[40:41], v[204:205], v[40:41]
	v_add_f64 v[42:43], v[42:43], v[48:49]
	v_mul_f64 v[48:49], v[4:5], s[52:53]
	v_mul_f64 v[4:5], v[4:5], s[38:39]
	v_fma_f64 v[170:171], v[50:51], s[10:11], -v[109:110]
	v_fma_f64 v[109:110], v[50:51], s[10:11], v[109:110]
	v_fma_f64 v[176:177], v[50:51], s[12:13], v[0:1]
	v_fma_f64 v[0:1], v[50:51], s[12:13], -v[0:1]
	v_add_f64 v[62:63], v[18:19], v[62:63]
	v_mul_f64 v[50:51], v[24:25], s[50:51]
	v_add_f64 v[38:39], v[38:39], v[42:43]
	v_fma_f64 v[192:193], v[52:53], s[14:15], -v[48:49]
	v_fma_f64 v[48:49], v[52:53], s[14:15], v[48:49]
	v_fma_f64 v[198:199], v[52:53], s[20:21], -v[4:5]
	v_fma_f64 v[4:5], v[52:53], s[20:21], v[4:5]
	v_add_f64 v[52:53], v[18:19], v[162:163]
	v_add_f64 v[162:163], v[18:19], v[164:165]
	;; [unrolled: 1-line block ×11, first 2 shown]
	v_mul_f64 v[42:43], v[24:25], s[30:31]
	v_mul_f64 v[18:19], v[24:25], s[28:29]
	;; [unrolled: 1-line block ×4, first 2 shown]
	v_add_f64 v[34:35], v[34:35], v[38:39]
	v_mul_f64 v[38:39], v[20:21], s[48:49]
	v_add_f64 v[48:49], v[48:49], v[66:67]
	v_add_f64 v[4:5], v[4:5], v[113:114]
	v_add_f64 v[52:53], v[184:185], v[52:53]
	v_add_f64 v[60:61], v[120:121], v[162:163]
	v_add_f64 v[115:116], v[190:191], v[164:165]
	v_add_f64 v[120:121], v[192:193], v[166:167]
	v_add_f64 v[124:125], v[194:195], v[168:169]
	v_add_f64 v[109:110], v[126:127], v[109:110]
	v_add_f64 v[126:127], v[196:197], v[170:171]
	v_add_f64 v[162:163], v[198:199], v[172:173]
	v_add_f64 v[66:67], v[122:123], v[174:175]
	v_add_f64 v[0:1], v[188:189], v[0:1]
	v_fma_f64 v[164:165], v[56:57], s[2:3], -v[144:145]
	v_fma_f64 v[144:145], v[56:57], s[2:3], v[144:145]
	v_fma_f64 v[166:167], v[56:57], s[16:17], -v[146:147]
	v_fma_f64 v[146:147], v[56:57], s[16:17], v[146:147]
	;; [unrolled: 2-line block ×7, first 2 shown]
	v_add_f64 v[62:63], v[136:137], v[62:63]
	v_mul_f64 v[113:114], v[20:21], s[46:47]
	v_mul_f64 v[122:123], v[20:21], s[36:37]
	v_fma_f64 v[136:137], v[58:59], s[6:7], -v[158:159]
	v_fma_f64 v[188:189], v[58:59], s[2:3], -v[180:181]
	v_fma_f64 v[180:181], v[58:59], s[2:3], v[180:181]
	v_fma_f64 v[190:191], v[58:59], s[20:21], -v[182:183]
	v_fma_f64 v[182:183], v[58:59], s[20:21], v[182:183]
	v_fma_f64 v[192:193], v[58:59], s[10:11], -v[18:19]
	v_add_f64 v[30:31], v[30:31], v[34:35]
	v_mul_f64 v[34:35], v[20:21], s[24:25]
	v_mul_f64 v[20:21], v[20:21], s[26:27]
	v_fma_f64 v[18:19], v[58:59], s[10:11], v[18:19]
	v_add_f64 v[4:5], v[8:9], v[4:5]
	v_add_f64 v[52:53], v[202:203], v[52:53]
	;; [unrolled: 1-line block ×13, first 2 shown]
	v_fma_f64 v[138:139], v[58:59], s[6:7], v[158:159]
	v_fma_f64 v[140:141], v[58:59], s[14:15], -v[160:161]
	v_fma_f64 v[142:143], v[58:59], s[14:15], v[160:161]
	v_fma_f64 v[158:159], v[58:59], s[18:19], -v[42:43]
	;; [unrolled: 2-line block ×4, first 2 shown]
	v_fma_f64 v[178:179], v[58:59], s[16:17], v[178:179]
	v_add_f64 v[54:55], v[144:145], v[54:55]
	v_add_f64 v[40:41], v[166:167], v[40:41]
	v_mul_f64 v[66:67], v[28:29], s[40:41]
	v_mul_f64 v[132:133], v[28:29], s[42:43]
	;; [unrolled: 1-line block ×3, first 2 shown]
	v_fma_f64 v[166:167], v[46:47], s[18:19], -v[113:114]
	v_fma_f64 v[113:114], v[46:47], s[18:19], v[113:114]
	v_mul_f64 v[144:145], v[32:33], s[34:35]
	v_add_f64 v[22:23], v[22:23], v[30:31]
	v_mul_f64 v[30:31], v[28:29], s[26:27]
	v_add_f64 v[4:5], v[12:13], v[4:5]
	v_add_f64 v[52:53], v[164:165], v[52:53]
	;; [unrolled: 1-line block ×14, first 2 shown]
	v_fma_f64 v[146:147], v[46:47], s[10:11], -v[24:25]
	v_fma_f64 v[24:25], v[46:47], s[10:11], v[24:25]
	v_fma_f64 v[148:149], v[46:47], s[6:7], -v[38:39]
	v_fma_f64 v[38:39], v[46:47], s[6:7], v[38:39]
	;; [unrolled: 2-line block ×7, first 2 shown]
	v_mul_f64 v[48:49], v[32:33], s[36:37]
	v_mul_f64 v[126:127], v[32:33], s[38:39]
	v_add_f64 v[22:23], v[26:27], v[22:23]
	v_mul_f64 v[26:27], v[28:29], s[30:31]
	v_mul_f64 v[28:29], v[28:29], s[22:23]
	v_add_f64 v[4:5], v[18:19], v[4:5]
	v_add_f64 v[46:47], v[136:137], v[52:53]
	;; [unrolled: 1-line block ×16, first 2 shown]
	v_mul_f64 v[40:41], v[32:33], s[28:29]
	v_fma_f64 v[124:125], v[44:45], s[14:15], -v[128:129]
	v_fma_f64 v[128:129], v[44:45], s[14:15], v[128:129]
	v_fma_f64 v[136:137], v[44:45], s[12:13], -v[30:31]
	v_fma_f64 v[30:31], v[44:45], s[12:13], v[30:31]
	;; [unrolled: 2-line block ×6, first 2 shown]
	v_mul_f64 v[42:43], v[32:33], s[26:27]
	v_mul_f64 v[120:121], v[32:33], s[22:23]
	v_add_f64 v[14:15], v[14:15], v[22:23]
	v_mul_f64 v[22:23], v[32:33], s[30:31]
	v_fma_f64 v[160:161], v[44:45], s[18:19], -v[26:27]
	v_fma_f64 v[26:27], v[44:45], s[18:19], v[26:27]
	v_fma_f64 v[162:163], v[44:45], s[6:7], -v[28:29]
	v_fma_f64 v[28:29], v[44:45], s[6:7], v[28:29]
	v_add_f64 v[44:45], v[146:147], v[46:47]
	v_add_f64 v[24:25], v[24:25], v[52:53]
	;; [unrolled: 1-line block ×9, first 2 shown]
	v_mul_f64 v[32:33], v[32:33], s[24:25]
	v_add_f64 v[60:61], v[170:171], v[115:116]
	v_add_f64 v[4:5], v[20:21], v[4:5]
	;; [unrolled: 1-line block ×7, first 2 shown]
	v_fma_f64 v[34:35], v[64:65], s[16:17], v[48:49]
	v_fma_f64 v[122:123], v[64:65], s[10:11], -v[40:41]
	v_fma_f64 v[36:37], v[64:65], s[20:21], -v[126:127]
	;; [unrolled: 1-line block ×3, first 2 shown]
	v_fma_f64 v[113:114], v[64:65], s[14:15], v[144:145]
	v_fma_f64 v[40:41], v[64:65], s[10:11], v[40:41]
	v_fma_f64 v[144:145], v[64:65], s[6:7], -v[120:121]
	v_fma_f64 v[120:121], v[64:65], s[6:7], v[120:121]
	v_add_f64 v[10:11], v[10:11], v[14:15]
	v_fma_f64 v[115:116], v[64:65], s[18:19], -v[22:23]
	v_fma_f64 v[14:15], v[64:65], s[16:17], -v[48:49]
	v_fma_f64 v[48:49], v[64:65], s[20:21], v[126:127]
	v_fma_f64 v[126:127], v[64:65], s[12:13], -v[42:43]
	v_fma_f64 v[42:43], v[64:65], s[12:13], v[42:43]
	v_add_f64 v[44:45], v[124:125], v[44:45]
	v_add_f64 v[24:25], v[128:129], v[24:25]
	;; [unrolled: 1-line block ×9, first 2 shown]
	v_fma_f64 v[146:147], v[64:65], s[2:3], -v[32:33]
	v_fma_f64 v[32:33], v[64:65], s[2:3], v[32:33]
	v_add_f64 v[58:59], v[162:163], v[60:61]
	v_add_f64 v[4:5], v[28:29], v[4:5]
	v_add_f64 v[8:9], v[26:27], v[8:9]
	v_fma_f64 v[22:23], v[64:65], s[18:19], v[22:23]
	v_add_f64 v[12:13], v[132:133], v[12:13]
	v_add_f64 v[18:19], v[66:67], v[18:19]
	;; [unrolled: 1-line block ×21, first 2 shown]
                                        ; implicit-def: $vgpr113_vgpr114
	v_add_f64 v[2:3], v[2:3], v[6:7]
	ds_store_2addr_b64 v16, v[24:25], v[26:27] offset0:4 offset1:5
	ds_store_2addr_b64 v16, v[28:29], v[34:35] offset0:6 offset1:7
	;; [unrolled: 1-line block ×6, first 2 shown]
	ds_store_b64 v16, v[109:110] offset:128
	ds_store_2addr_b64 v16, v[2:3], v[10:11] offset1:1
	ds_store_2addr_b64 v16, v[20:21], v[0:1] offset0:2 offset1:3
	s_waitcnt lgkmcnt(0)
	s_barrier
	buffer_gl0_inv
	ds_load_2addr_b64 v[0:3], v112 offset0:92 offset1:194
	ds_load_2addr_b64 v[4:7], v117 offset0:68 offset1:136
	;; [unrolled: 1-line block ×7, first 2 shown]
	ds_load_b64 v[111:112], v118
	ds_load_b64 v[115:116], v117 offset:8432
	s_and_saveexec_b32 s1, s0
	s_cbranch_execz .LBB0_14
; %bb.13:
	ds_load_b64 v[109:110], v117 offset:4352
	ds_load_b64 v[113:114], v117 offset:8976
.LBB0_14:
	s_or_b32 exec_lo, exec_lo, s1
	v_add_nc_u16 v28, v98, 0x44
	v_add_nc_u16 v29, v98, 0x88
	v_and_b32_e32 v30, 0xff, v98
	v_add_nc_u32_e32 v36, 0xcc, v98
	v_add_nc_u32_e32 v99, 0x110, v98
	v_and_b32_e32 v31, 0xff, v28
	v_and_b32_e32 v32, 0xff, v29
	v_mul_lo_u16 v30, 0xf1, v30
	v_add_nc_u32_e32 v100, 0x154, v98
	v_add_nc_u32_e32 v66, 0x198, v98
	v_mul_lo_u16 v31, 0xf1, v31
	v_mul_lo_u16 v32, 0xf1, v32
	v_add_nc_u32_e32 v64, 0x1dc, v98
	v_lshrrev_b16 v67, 12, v30
	v_and_b32_e32 v30, 0xffff, v36
	v_lshrrev_b16 v138, 12, v31
	v_lshrrev_b16 v150, 12, v32
	v_and_b32_e32 v31, 0xffff, v99
	v_and_b32_e32 v34, 0xffff, v100
	;; [unrolled: 1-line block ×3, first 2 shown]
	v_mul_lo_u16 v33, v138, 17
	v_mul_lo_u16 v37, v150, 17
	v_mul_u32_u24_e32 v38, 0xf0f1, v30
	v_mul_u32_u24_e32 v39, 0xf0f1, v34
	v_mul_u32_u24_e32 v40, 0xf0f1, v35
	v_sub_nc_u16 v28, v28, v33
	v_and_b32_e32 v33, 0xffff, v64
	v_sub_nc_u16 v29, v29, v37
	v_mul_u32_u24_e32 v37, 0xf0f1, v31
	v_lshrrev_b32_e32 v154, 20, v38
	v_lshrrev_b32_e32 v156, 20, v39
	v_mul_u32_u24_e32 v41, 0xf0f1, v33
	v_lshrrev_b32_e32 v157, 20, v40
	v_lshrrev_b32_e32 v155, 20, v37
	v_mul_lo_u16 v32, v67, 17
	v_mul_lo_u16 v37, v154, 17
	v_lshrrev_b32_e32 v158, 20, v41
	v_mul_lo_u16 v39, v156, 17
	v_mul_lo_u16 v38, v155, 17
	;; [unrolled: 1-line block ×3, first 2 shown]
	v_sub_nc_u16 v32, v98, v32
	v_mul_lo_u16 v41, v158, 17
	v_sub_nc_u16 v36, v36, v37
	v_sub_nc_u16 v37, v99, v38
	;; [unrolled: 1-line block ×5, first 2 shown]
	v_and_b32_e32 v151, 0xff, v32
	v_and_b32_e32 v153, 0xff, v29
	;; [unrolled: 1-line block ×8, first 2 shown]
	v_lshlrev_b32_e32 v28, 4, v151
	v_lshlrev_b32_e32 v42, 4, v153
	;; [unrolled: 1-line block ×5, first 2 shown]
	v_add_nc_u32_e32 v65, 0x220, v98
	v_lshlrev_b32_e32 v48, 4, v161
	v_lshlrev_b32_e32 v52, 4, v162
	;; [unrolled: 1-line block ×3, first 2 shown]
	s_clause 0x7
	global_load_b128 v[28:31], v28, s[4:5]
	global_load_b128 v[32:35], v32, s[4:5]
	;; [unrolled: 1-line block ×8, first 2 shown]
	v_and_b32_e32 v60, 0xffff, v65
	v_and_b32_e32 v166, 0xffff, v138
	;; [unrolled: 1-line block ×3, first 2 shown]
	s_delay_alu instid0(VALU_DEP_3) | instskip(NEXT) | instid1(VALU_DEP_2)
	v_mul_u32_u24_e32 v60, 0xf0f1, v60
	v_mad_u32_u24 v67, 0x110, v67, 0
	s_delay_alu instid0(VALU_DEP_2) | instskip(NEXT) | instid1(VALU_DEP_1)
	v_lshrrev_b32_e32 v164, 20, v60
	v_mul_lo_u16 v60, v164, 17
	s_delay_alu instid0(VALU_DEP_1) | instskip(NEXT) | instid1(VALU_DEP_1)
	v_sub_nc_u16 v60, v65, v60
	v_and_b32_e32 v165, 0xffff, v60
	s_delay_alu instid0(VALU_DEP_1)
	v_lshlrev_b32_e32 v60, 4, v165
	global_load_b128 v[60:63], v60, s[4:5]
	s_waitcnt vmcnt(0) lgkmcnt(0)
	s_barrier
	buffer_gl0_inv
	v_mul_f64 v[124:125], v[18:19], v[38:39]
	v_mul_f64 v[126:127], v[20:21], v[42:43]
	;; [unrolled: 1-line block ×8, first 2 shown]
	v_fma_f64 v[124:125], v[82:83], v[36:37], v[124:125]
	v_fma_f64 v[126:127], v[72:73], v[40:41], v[126:127]
	;; [unrolled: 1-line block ×4, first 2 shown]
	v_mul_f64 v[136:137], v[113:114], v[62:63]
	v_fma_f64 v[134:135], v[103:104], v[56:57], v[134:135]
	v_fma_f64 v[122:123], v[80:81], v[32:33], v[122:123]
	;; [unrolled: 1-line block ×4, first 2 shown]
	v_add_f64 v[124:125], v[86:87], -v[124:125]
	v_add_f64 v[126:127], v[88:89], -v[126:127]
	;; [unrolled: 1-line block ×4, first 2 shown]
	v_fma_f64 v[136:137], v[105:106], v[60:61], v[136:137]
	v_add_f64 v[134:135], v[76:77], -v[134:135]
	v_add_f64 v[122:123], v[84:85], -v[122:123]
	;; [unrolled: 1-line block ×4, first 2 shown]
	v_fma_f64 v[140:141], v[86:87], 2.0, -v[124:125]
	v_fma_f64 v[142:143], v[88:89], 2.0, -v[126:127]
	;; [unrolled: 1-line block ×4, first 2 shown]
	v_lshlrev_b32_e32 v86, 3, v151
	v_fma_f64 v[148:149], v[76:77], 2.0, -v[134:135]
	v_add_f64 v[76:77], v[101:102], -v[136:137]
	v_fma_f64 v[138:139], v[84:85], 2.0, -v[122:123]
	v_fma_f64 v[146:147], v[92:93], 2.0, -v[130:131]
	;; [unrolled: 1-line block ×3, first 2 shown]
	v_and_b32_e32 v85, 0xffff, v150
	v_mad_u32_u24 v89, 0x110, v154, 0
	v_mad_u32_u24 v90, 0x110, v155, 0
	;; [unrolled: 1-line block ×7, first 2 shown]
	v_add3_u32 v86, v67, v86, v119
	v_lshlrev_b32_e32 v67, 3, v152
	v_lshlrev_b32_e32 v136, 3, v153
	;; [unrolled: 1-line block ×7, first 2 shown]
	v_mul_lo_u16 v84, v164, 34
	v_lshl_add_u32 v85, v165, 3, 0
	v_add3_u32 v87, v87, v67, v119
	v_add3_u32 v88, v88, v136, v119
	;; [unrolled: 1-line block ×7, first 2 shown]
	ds_store_2addr_b64 v86, v[107:108], v[120:121] offset1:17
	ds_store_2addr_b64 v87, v[138:139], v[122:123] offset1:17
	;; [unrolled: 1-line block ×8, first 2 shown]
	s_and_saveexec_b32 s1, s0
	s_cbranch_execz .LBB0_16
; %bb.15:
	v_fma_f64 v[94:95], v[101:102], 2.0, -v[76:77]
	v_and_b32_e32 v67, 0xffff, v84
	s_delay_alu instid0(VALU_DEP_1) | instskip(NEXT) | instid1(VALU_DEP_1)
	v_lshlrev_b32_e32 v67, 3, v67
	v_add3_u32 v67, v85, v67, v119
	ds_store_2addr_b64 v67, v[94:95], v[76:77] offset1:17
.LBB0_16:
	s_or_b32 exec_lo, exec_lo, s1
	v_mul_f64 v[30:31], v[78:79], v[30:31]
	v_mul_f64 v[34:35], v[80:81], v[34:35]
	;; [unrolled: 1-line block ×8, first 2 shown]
	v_add_nc_u32_e32 v70, 0x800, v117
	v_add_nc_u32_e32 v71, 0xc00, v117
	v_add_nc_u32_e32 v107, 0x1000, v117
	v_add_nc_u32_e32 v69, 0x1400, v117
	s_waitcnt lgkmcnt(0)
	s_barrier
	buffer_gl0_inv
	v_add_nc_u32_e32 v108, 0x1800, v117
	v_add_nc_u32_e32 v72, 0x1c00, v117
	v_fma_f64 v[2:3], v[2:3], v[28:29], -v[30:31]
	v_mul_f64 v[30:31], v[105:106], v[62:63]
	v_fma_f64 v[16:17], v[16:17], v[32:33], -v[34:35]
	v_fma_f64 v[18:19], v[18:19], v[36:37], -v[38:39]
	v_fma_f64 v[20:21], v[20:21], v[40:41], -v[42:43]
	v_fma_f64 v[22:23], v[22:23], v[44:45], -v[46:47]
	v_fma_f64 v[24:25], v[24:25], v[48:49], -v[50:51]
	v_fma_f64 v[26:27], v[26:27], v[52:53], -v[54:55]
	v_fma_f64 v[28:29], v[115:116], v[56:57], -v[58:59]
	v_add_nc_u32_e32 v63, 0x400, v117
	ds_load_b64 v[67:68], v118
	ds_load_2addr_b64 v[48:51], v117 offset0:68 offset1:136
	v_add_f64 v[32:33], v[111:112], -v[2:3]
	v_fma_f64 v[2:3], v[113:114], v[60:61], -v[30:31]
	v_add_f64 v[34:35], v[4:5], -v[16:17]
	v_add_f64 v[36:37], v[6:7], -v[18:19]
	;; [unrolled: 1-line block ×7, first 2 shown]
	v_fma_f64 v[30:31], v[111:112], 2.0, -v[32:33]
	v_add_f64 v[56:57], v[109:110], -v[2:3]
	v_fma_f64 v[42:43], v[4:5], 2.0, -v[34:35]
	v_fma_f64 v[52:53], v[6:7], 2.0, -v[36:37]
	;; [unrolled: 1-line block ×7, first 2 shown]
	ds_load_2addr_b64 v[44:47], v63 offset0:76 offset1:144
	ds_load_2addr_b64 v[20:23], v70 offset0:84 offset1:152
	ds_load_2addr_b64 v[4:7], v71 offset0:92 offset1:160
	ds_load_2addr_b64 v[0:3], v107 offset0:100 offset1:168
	ds_load_2addr_b64 v[8:11], v69 offset0:108 offset1:176
	ds_load_2addr_b64 v[12:15], v108 offset0:116 offset1:184
	ds_load_2addr_b64 v[16:19], v72 offset0:124 offset1:192
	s_waitcnt lgkmcnt(0)
	s_barrier
	buffer_gl0_inv
	ds_store_2addr_b64 v86, v[30:31], v[32:33] offset1:17
	ds_store_2addr_b64 v87, v[42:43], v[34:35] offset1:17
	;; [unrolled: 1-line block ×8, first 2 shown]
	s_and_saveexec_b32 s1, s0
	s_cbranch_execz .LBB0_18
; %bb.17:
	v_fma_f64 v[24:25], v[109:110], 2.0, -v[56:57]
	v_and_b32_e32 v26, 0xffff, v84
	s_delay_alu instid0(VALU_DEP_1) | instskip(NEXT) | instid1(VALU_DEP_1)
	v_lshlrev_b32_e32 v26, 3, v26
	v_add3_u32 v26, v85, v26, v119
	ds_store_2addr_b64 v26, v[24:25], v[56:57] offset1:17
.LBB0_18:
	s_or_b32 exec_lo, exec_lo, s1
	v_subrev_nc_u32_e32 v58, 34, v98
	s_waitcnt lgkmcnt(0)
	s_barrier
	buffer_gl0_inv
	s_mov_b32 s2, 0x5d8e7cdc
	v_cndmask_b32_e64 v113, v58, v98, s0
	v_mov_b32_e32 v25, 0
	s_mov_b32 s6, 0x2a9d6da3
	s_mov_b32 s10, 0x7c9e640b
	;; [unrolled: 1-line block ×3, first 2 shown]
	v_lshlrev_b32_e32 v24, 4, v113
	s_mov_b32 s7, 0xbfe58eea
	s_mov_b32 s11, 0xbfeca52d
	;; [unrolled: 1-line block ×4, first 2 shown]
	v_lshlrev_b64 v[24:25], 4, v[24:25]
	s_mov_b32 s13, 0xbfefdd0d
	s_mov_b32 s15, 0xbfeec746
	;; [unrolled: 1-line block ×5, first 2 shown]
	v_add_co_u32 v24, s1, s4, v24
	s_delay_alu instid0(VALU_DEP_1)
	v_add_co_ci_u32_e64 v25, s1, s5, v25, s1
	s_mov_b32 s27, 0xbfe0d888
	s_mov_b32 s28, 0xacd6c6b4
	;; [unrolled: 1-line block ×3, first 2 shown]
	s_clause 0xf
	global_load_b128 v[78:81], v[24:25], off offset:272
	global_load_b128 v[40:43], v[24:25], off offset:288
	;; [unrolled: 1-line block ×16, first 2 shown]
	ds_load_2addr_b64 v[109:112], v117 offset0:68 offset1:136
	ds_load_2addr_b64 v[144:147], v63 offset0:76 offset1:144
	ds_load_2addr_b64 v[148:151], v70 offset0:84 offset1:152
	s_mov_b32 s22, 0x370991
	s_mov_b32 s16, 0x75d4884
	;; [unrolled: 1-line block ×32, first 2 shown]
	v_cmp_lt_u32_e64 s1, 33, v98
	s_waitcnt vmcnt(15) lgkmcnt(2)
	v_mul_f64 v[52:53], v[109:110], v[80:81]
	s_waitcnt vmcnt(14)
	v_mul_f64 v[54:55], v[111:112], v[42:43]
	s_waitcnt vmcnt(13) lgkmcnt(1)
	v_mul_f64 v[59:60], v[144:145], v[38:39]
	s_waitcnt vmcnt(12)
	v_mul_f64 v[73:74], v[146:147], v[34:35]
	s_waitcnt vmcnt(11) lgkmcnt(0)
	v_mul_f64 v[105:106], v[148:149], v[84:85]
	v_mul_f64 v[80:81], v[48:49], v[80:81]
	s_waitcnt vmcnt(10)
	v_mul_f64 v[114:115], v[18:19], v[88:89]
	v_mul_f64 v[42:43], v[50:51], v[42:43]
	s_waitcnt vmcnt(8)
	v_mul_f64 v[168:169], v[150:151], v[122:123]
	v_mul_f64 v[122:123], v[22:23], v[122:123]
	;; [unrolled: 1-line block ×3, first 2 shown]
	s_waitcnt vmcnt(6)
	v_mul_f64 v[170:171], v[12:13], v[126:127]
	s_waitcnt vmcnt(1)
	v_mul_f64 v[182:183], v[6:7], v[30:31]
	v_fma_f64 v[52:53], v[48:49], v[78:79], v[52:53]
	v_fma_f64 v[54:55], v[50:51], v[40:41], v[54:55]
	;; [unrolled: 1-line block ×3, first 2 shown]
	v_mul_f64 v[50:51], v[16:17], v[92:93]
	v_fma_f64 v[48:49], v[20:21], v[82:83], v[105:106]
	v_mul_f64 v[20:21], v[20:21], v[84:85]
	v_mul_f64 v[44:45], v[14:15], v[103:104]
	v_fma_f64 v[111:112], v[111:112], v[40:41], -v[42:43]
	v_add_f64 v[61:62], v[67:68], v[52:53]
	s_delay_alu instid0(VALU_DEP_4) | instskip(NEXT) | instid1(VALU_DEP_2)
	v_fma_f64 v[82:83], v[148:149], v[82:83], -v[20:21]
	v_add_f64 v[94:95], v[61:62], v[54:55]
	v_fma_f64 v[61:62], v[46:47], v[32:33], v[73:74]
	ds_load_2addr_b64 v[152:155], v71 offset0:92 offset1:160
	ds_load_2addr_b64 v[156:159], v107 offset0:100 offset1:168
	;; [unrolled: 1-line block ×5, first 2 shown]
	v_mul_f64 v[46:47], v[46:47], v[34:35]
	s_waitcnt lgkmcnt(4)
	v_mul_f64 v[174:175], v[152:153], v[130:131]
	s_waitcnt lgkmcnt(3)
	v_mul_f64 v[180:181], v[158:159], v[142:143]
	v_mul_f64 v[130:131], v[4:5], v[130:131]
	s_waitcnt lgkmcnt(1)
	v_mul_f64 v[126:127], v[164:165], v[126:127]
	s_waitcnt lgkmcnt(0)
	v_mul_f64 v[105:106], v[74:75], v[88:89]
	v_fma_f64 v[88:89], v[109:110], v[78:79], -v[80:81]
	v_fma_f64 v[34:35], v[74:75], v[86:87], -v[114:115]
	v_mul_f64 v[84:85], v[72:73], v[92:93]
	v_mul_f64 v[114:115], v[154:155], v[30:31]
	v_fma_f64 v[30:31], v[72:73], v[90:91], -v[50:51]
	v_fma_f64 v[72:73], v[22:23], v[120:121], v[168:169]
	v_mul_f64 v[80:81], v[2:3], v[142:143]
	v_mul_f64 v[176:177], v[162:163], v[134:135]
	;; [unrolled: 1-line block ×6, first 2 shown]
	s_waitcnt vmcnt(0)
	v_mul_f64 v[142:143], v[156:157], v[26:27]
	v_fma_f64 v[109:110], v[144:145], v[36:37], -v[38:39]
	v_fma_f64 v[36:37], v[166:167], v[101:102], -v[44:45]
	v_add_f64 v[94:95], v[94:95], v[59:60]
	v_fma_f64 v[74:75], v[150:151], v[120:121], -v[122:123]
	v_mul_f64 v[26:27], v[0:1], v[26:27]
	v_fma_f64 v[50:51], v[2:3], v[140:141], v[180:181]
	v_fma_f64 v[44:45], v[152:153], v[128:129], -v[130:131]
	v_fma_f64 v[92:93], v[18:19], v[86:87], v[105:106]
	v_fma_f64 v[105:106], v[12:13], v[124:125], v[126:127]
	v_add_f64 v[2:3], v[88:89], -v[34:35]
	v_fma_f64 v[103:104], v[16:17], v[90:91], v[84:85]
	v_fma_f64 v[86:87], v[6:7], v[28:29], v[114:115]
	v_fma_f64 v[42:43], v[158:159], v[140:141], -v[80:81]
	v_fma_f64 v[84:85], v[10:11], v[132:133], v[176:177]
	v_fma_f64 v[38:39], v[162:163], v[132:133], -v[134:135]
	;; [unrolled: 2-line block ×3, first 2 shown]
	v_fma_f64 v[101:102], v[14:15], v[101:102], v[172:173]
	v_fma_f64 v[90:91], v[0:1], v[24:25], v[142:143]
	v_fma_f64 v[80:81], v[154:155], v[28:29], -v[182:183]
	v_add_f64 v[8:9], v[109:110], -v[36:37]
	v_add_f64 v[94:95], v[94:95], v[61:62]
	v_fma_f64 v[28:29], v[156:157], v[24:25], -v[26:27]
	v_add_f64 v[12:13], v[52:53], v[92:93]
	v_add_f64 v[18:19], v[61:62], v[105:106]
	v_mul_f64 v[114:115], v[2:3], s[2:3]
	v_mul_f64 v[120:121], v[2:3], s[6:7]
	;; [unrolled: 1-line block ×6, first 2 shown]
	v_add_f64 v[14:15], v[54:55], v[103:104]
	v_add_f64 v[20:21], v[48:49], v[84:85]
	v_add_f64 v[0:1], v[72:73], v[78:79]
	v_add_f64 v[24:25], v[74:75], -v[40:41]
	v_add_f64 v[16:17], v[59:60], v[101:102]
	v_add_f64 v[122:123], v[44:45], -v[42:43]
	v_mul_f64 v[152:153], v[8:9], s[10:11]
	v_add_f64 v[22:23], v[94:95], v[48:49]
	v_fma_f64 v[94:95], v[146:147], v[32:33], -v[46:47]
	v_fma_f64 v[46:47], v[4:5], v[128:129], v[174:175]
	v_fma_f64 v[32:33], v[164:165], v[124:125], -v[170:171]
	v_add_f64 v[4:5], v[111:112], -v[30:31]
	v_mul_f64 v[124:125], v[2:3], s[10:11]
	v_mul_f64 v[2:3], v[2:3], s[28:29]
	;; [unrolled: 1-line block ×9, first 2 shown]
	v_add_f64 v[134:135], v[80:81], -v[28:29]
	v_add_f64 v[128:129], v[86:87], v[90:91]
	v_fma_f64 v[184:185], v[12:13], s[22:23], v[114:115]
	v_fma_f64 v[186:187], v[12:13], s[16:17], v[120:121]
	v_fma_f64 v[120:121], v[12:13], s[16:17], -v[120:121]
	v_fma_f64 v[190:191], v[12:13], s[20:21], v[126:127]
	v_fma_f64 v[126:127], v[12:13], s[20:21], -v[126:127]
	v_fma_f64 v[192:193], v[12:13], s[30:31], v[130:131]
	v_fma_f64 v[194:195], v[12:13], s[34:35], v[132:133]
	v_fma_f64 v[132:133], v[12:13], s[34:35], -v[132:133]
	v_fma_f64 v[196:197], v[12:13], s[36:37], v[136:137]
	v_fma_f64 v[136:137], v[12:13], s[36:37], -v[136:137]
	v_fma_f64 v[130:131], v[12:13], s[30:31], -v[130:131]
	v_mul_f64 v[224:225], v[24:25], s[2:3]
	v_mul_f64 v[226:227], v[24:25], s[26:27]
	v_fma_f64 v[228:229], v[16:17], s[18:19], v[152:153]
	v_add_f64 v[6:7], v[22:23], v[72:73]
	v_add_f64 v[22:23], v[82:83], -v[38:39]
	v_fma_f64 v[152:153], v[16:17], s[18:19], -v[152:153]
	v_add_f64 v[10:11], v[94:95], -v[32:33]
	v_mul_f64 v[138:139], v[4:5], s[6:7]
	v_mul_f64 v[140:141], v[4:5], s[12:13]
	;; [unrolled: 1-line block ×8, first 2 shown]
	v_fma_f64 v[188:189], v[12:13], s[18:19], v[124:125]
	v_fma_f64 v[198:199], v[12:13], s[54:55], v[2:3]
	v_fma_f64 v[2:3], v[12:13], s[54:55], -v[2:3]
	v_fma_f64 v[124:125], v[12:13], s[18:19], -v[124:125]
	;; [unrolled: 1-line block ×3, first 2 shown]
	v_fma_f64 v[230:231], v[16:17], s[34:35], v[154:155]
	v_fma_f64 v[154:155], v[16:17], s[34:35], -v[154:155]
	v_fma_f64 v[232:233], v[16:17], s[54:55], v[156:157]
	v_fma_f64 v[156:157], v[16:17], s[54:55], -v[156:157]
	;; [unrolled: 2-line block ×4, first 2 shown]
	v_fma_f64 v[238:239], v[16:17], s[22:23], v[162:163]
	v_add_f64 v[120:121], v[67:68], v[120:121]
	v_fma_f64 v[162:163], v[16:17], s[22:23], -v[162:163]
	v_add_f64 v[126:127], v[67:68], v[126:127]
	v_fma_f64 v[240:241], v[16:17], s[20:21], v[164:165]
	v_fma_f64 v[164:165], v[16:17], s[20:21], -v[164:165]
	v_add_f64 v[132:133], v[67:68], v[132:133]
	v_fma_f64 v[242:243], v[16:17], s[36:37], v[8:9]
	v_add_f64 v[136:137], v[67:68], v[136:137]
	v_add_f64 v[130:131], v[67:68], v[130:131]
	v_fma_f64 v[8:9], v[16:17], s[36:37], -v[8:9]
	v_add_f64 v[26:27], v[46:47], v[50:51]
	v_add_f64 v[6:7], v[6:7], v[46:47]
	v_mul_f64 v[180:181], v[22:23], s[14:15]
	v_mul_f64 v[182:183], v[22:23], s[44:45]
	;; [unrolled: 1-line block ×3, first 2 shown]
	v_fma_f64 v[208:209], v[14:15], s[16:17], v[138:139]
	v_fma_f64 v[138:139], v[14:15], s[16:17], -v[138:139]
	v_fma_f64 v[210:211], v[14:15], s[20:21], v[140:141]
	v_fma_f64 v[140:141], v[14:15], s[20:21], -v[140:141]
	;; [unrolled: 2-line block ×8, first 2 shown]
	v_add_f64 v[14:15], v[67:68], v[184:185]
	v_add_f64 v[184:185], v[67:68], v[186:187]
	;; [unrolled: 1-line block ×11, first 2 shown]
	v_mul_f64 v[168:169], v[10:11], s[28:29]
	v_mul_f64 v[170:171], v[10:11], s[38:39]
	v_mul_f64 v[172:173], v[10:11], s[50:51]
	v_mul_f64 v[174:175], v[10:11], s[10:11]
	v_mul_f64 v[176:177], v[10:11], s[26:27]
	v_mul_f64 v[178:179], v[10:11], s[48:49]
	v_mul_f64 v[10:11], v[10:11], s[46:47]
	v_add_f64 v[6:7], v[6:7], v[86:87]
	v_mul_f64 v[114:115], v[22:23], s[46:47]
	v_mul_f64 v[200:201], v[22:23], s[10:11]
	;; [unrolled: 1-line block ×6, first 2 shown]
	v_add_f64 v[120:121], v[140:141], v[120:121]
	v_mul_f64 v[67:68], v[24:25], s[24:25]
	v_mul_f64 v[198:199], v[24:25], s[38:39]
	v_add_f64 v[126:127], v[144:145], v[126:127]
	v_add_f64 v[130:131], v[146:147], v[130:131]
	v_mul_f64 v[146:147], v[122:123], s[26:27]
	v_add_f64 v[132:133], v[148:149], v[132:133]
	v_add_f64 v[14:15], v[208:209], v[14:15]
	;; [unrolled: 1-line block ×13, first 2 shown]
	v_fma_f64 v[150:151], v[18:19], s[20:21], v[166:167]
	v_fma_f64 v[166:167], v[18:19], s[20:21], -v[166:167]
	v_fma_f64 v[190:191], v[18:19], s[54:55], v[168:169]
	v_fma_f64 v[168:169], v[18:19], s[54:55], -v[168:169]
	;; [unrolled: 2-line block ×3, first 2 shown]
	v_add_f64 v[6:7], v[6:7], v[90:91]
	v_fma_f64 v[194:195], v[18:19], s[22:23], v[172:173]
	v_fma_f64 v[172:173], v[18:19], s[22:23], -v[172:173]
	v_fma_f64 v[196:197], v[18:19], s[18:19], v[174:175]
	v_fma_f64 v[174:175], v[18:19], s[18:19], -v[174:175]
	;; [unrolled: 2-line block ×5, first 2 shown]
	v_add_f64 v[18:19], v[154:155], v[120:121]
	v_add_f64 v[126:127], v[158:159], v[126:127]
	v_fma_f64 v[214:215], v[20:21], s[54:55], v[202:203]
	v_fma_f64 v[202:203], v[20:21], s[54:55], -v[202:203]
	v_add_f64 v[132:133], v[162:163], v[132:133]
	v_fma_f64 v[216:217], v[20:21], s[20:21], v[204:205]
	v_fma_f64 v[204:205], v[20:21], s[20:21], -v[204:205]
	v_fma_f64 v[218:219], v[20:21], s[22:23], v[206:207]
	v_fma_f64 v[206:207], v[20:21], s[22:23], -v[206:207]
	v_add_f64 v[14:15], v[228:229], v[14:15]
	v_add_f64 v[16:17], v[230:231], v[16:17]
	;; [unrolled: 1-line block ×13, first 2 shown]
	v_fma_f64 v[164:165], v[20:21], s[30:31], v[180:181]
	v_fma_f64 v[180:181], v[20:21], s[30:31], -v[180:181]
	v_fma_f64 v[184:185], v[20:21], s[36:37], v[182:183]
	v_fma_f64 v[182:183], v[20:21], s[36:37], -v[182:183]
	v_fma_f64 v[186:187], v[20:21], s[16:17], v[114:115]
	v_add_f64 v[6:7], v[6:7], v[50:51]
	v_fma_f64 v[114:115], v[20:21], s[16:17], -v[114:115]
	v_fma_f64 v[188:189], v[20:21], s[18:19], v[200:201]
	v_fma_f64 v[200:201], v[20:21], s[18:19], -v[200:201]
	v_fma_f64 v[220:221], v[20:21], s[34:35], v[22:23]
	v_fma_f64 v[20:21], v[20:21], s[34:35], -v[22:23]
	v_mul_f64 v[136:137], v[24:25], s[42:43]
	v_mul_f64 v[138:139], v[24:25], s[6:7]
	;; [unrolled: 1-line block ×5, first 2 shown]
	v_add_f64 v[18:19], v[168:169], v[18:19]
	v_add_f64 v[126:127], v[172:173], v[126:127]
	v_mul_f64 v[152:153], v[122:123], s[12:13]
	v_fma_f64 v[168:169], v[0:1], s[34:35], v[67:68]
	v_add_f64 v[132:133], v[176:177], v[132:133]
	v_fma_f64 v[172:173], v[0:1], s[30:31], -v[198:199]
	v_mul_f64 v[156:157], v[122:123], s[48:49]
	v_mul_f64 v[160:161], v[122:123], s[2:3]
	;; [unrolled: 1-line block ×3, first 2 shown]
	v_add_f64 v[14:15], v[150:151], v[14:15]
	v_add_f64 v[16:17], v[190:191], v[16:17]
	;; [unrolled: 1-line block ×13, first 2 shown]
	v_fma_f64 v[170:171], v[0:1], s[30:31], v[198:199]
	v_fma_f64 v[174:175], v[0:1], s[22:23], v[224:225]
	v_mul_f64 v[124:125], v[122:123], s[46:47]
	v_mul_f64 v[122:123], v[122:123], s[14:15]
	v_fma_f64 v[67:68], v[0:1], s[34:35], -v[67:68]
	v_add_f64 v[6:7], v[6:7], v[78:79]
	v_fma_f64 v[176:177], v[0:1], s[22:23], -v[224:225]
	v_fma_f64 v[178:179], v[0:1], s[36:37], v[226:227]
	v_fma_f64 v[190:191], v[0:1], s[36:37], -v[226:227]
	v_mul_f64 v[154:155], v[134:135], s[28:29]
	v_mul_f64 v[158:159], v[134:135], s[50:51]
	v_fma_f64 v[192:193], v[0:1], s[20:21], v[136:137]
	v_fma_f64 v[136:137], v[0:1], s[20:21], -v[136:137]
	v_fma_f64 v[194:195], v[0:1], s[16:17], v[138:139]
	v_fma_f64 v[138:139], v[0:1], s[16:17], -v[138:139]
	v_fma_f64 v[196:197], v[0:1], s[54:55], v[142:143]
	v_add_f64 v[18:19], v[182:183], v[18:19]
	v_fma_f64 v[142:143], v[0:1], s[54:55], -v[142:143]
	v_fma_f64 v[198:199], v[0:1], s[18:19], v[24:25]
	v_fma_f64 v[0:1], v[0:1], s[18:19], -v[24:25]
	v_add_f64 v[132:133], v[204:205], v[132:133]
	v_mul_f64 v[166:167], v[134:135], s[26:27]
	v_fma_f64 v[182:183], v[26:27], s[18:19], v[130:131]
	v_fma_f64 v[130:131], v[26:27], s[18:19], -v[130:131]
	v_add_f64 v[14:15], v[164:165], v[14:15]
	v_add_f64 v[16:17], v[184:185], v[16:17]
	v_add_f64 v[22:23], v[186:187], v[22:23]
	v_add_f64 v[24:25], v[188:189], v[120:121]
	v_add_f64 v[120:121], v[200:201], v[126:127]
	v_add_f64 v[126:127], v[214:215], v[140:141]
	v_add_f64 v[140:141], v[216:217], v[144:145]
	v_add_f64 v[144:145], v[218:219], v[148:149]
	v_add_f64 v[148:149], v[220:221], v[150:151]
	v_add_f64 v[2:3], v[20:21], v[2:3]
	v_add_f64 v[4:5], v[206:207], v[4:5]
	v_add_f64 v[8:9], v[202:203], v[8:9]
	v_add_f64 v[10:11], v[114:115], v[10:11]
	v_add_f64 v[12:13], v[180:181], v[12:13]
	v_fma_f64 v[180:181], v[26:27], s[36:37], v[146:147]
	v_fma_f64 v[184:185], v[26:27], s[20:21], v[152:153]
	v_mul_f64 v[20:21], v[134:135], s[46:47]
	v_mul_f64 v[114:115], v[134:135], s[24:25]
	v_add_f64 v[6:7], v[6:7], v[84:85]
	v_fma_f64 v[146:147], v[26:27], s[36:37], -v[146:147]
	v_fma_f64 v[152:153], v[26:27], s[20:21], -v[152:153]
	v_fma_f64 v[186:187], v[26:27], s[34:35], v[156:157]
	v_fma_f64 v[156:157], v[26:27], s[34:35], -v[156:157]
	v_fma_f64 v[188:189], v[26:27], s[22:23], v[160:161]
	;; [unrolled: 2-line block ×4, first 2 shown]
	v_fma_f64 v[124:125], v[26:27], s[16:17], -v[124:125]
	v_add_f64 v[18:19], v[172:173], v[18:19]
	v_fma_f64 v[204:205], v[26:27], s[30:31], v[122:123]
	v_fma_f64 v[26:27], v[26:27], s[30:31], -v[122:123]
	v_mul_f64 v[150:151], v[134:135], s[40:41]
	v_mul_f64 v[164:165], v[134:135], s[14:15]
	v_add_f64 v[132:133], v[138:139], v[132:133]
	v_mul_f64 v[134:135], v[134:135], s[42:43]
	v_add_f64 v[14:15], v[168:169], v[14:15]
	v_add_f64 v[16:17], v[170:171], v[16:17]
	;; [unrolled: 1-line block ×14, first 2 shown]
	v_fma_f64 v[12:13], v[128:129], s[54:55], v[154:155]
	v_fma_f64 v[136:137], v[128:129], s[22:23], v[158:159]
	v_fma_f64 v[142:143], v[128:129], s[22:23], -v[158:159]
	v_fma_f64 v[144:145], v[128:129], s[36:37], v[166:167]
	v_add_f64 v[6:7], v[6:7], v[105:106]
	v_fma_f64 v[67:68], v[128:129], s[54:55], -v[154:155]
	v_fma_f64 v[154:155], v[128:129], s[16:17], v[20:21]
	v_fma_f64 v[158:159], v[128:129], s[34:35], v[114:115]
	v_fma_f64 v[148:149], v[128:129], s[36:37], -v[166:167]
	v_fma_f64 v[20:21], v[128:129], s[16:17], -v[20:21]
	;; [unrolled: 1-line block ×3, first 2 shown]
	v_add_f64 v[18:19], v[130:131], v[18:19]
	v_fma_f64 v[166:167], v[128:129], s[18:19], v[150:151]
	v_fma_f64 v[168:169], v[128:129], s[30:31], v[164:165]
	v_add_f64 v[130:131], v[162:163], v[132:133]
	v_fma_f64 v[150:151], v[128:129], s[18:19], -v[150:151]
	v_fma_f64 v[164:165], v[128:129], s[30:31], -v[164:165]
	v_fma_f64 v[170:171], v[128:129], s[20:21], v[134:135]
	v_add_f64 v[14:15], v[180:181], v[14:15]
	v_add_f64 v[16:17], v[182:183], v[16:17]
	;; [unrolled: 1-line block ×4, first 2 shown]
	v_fma_f64 v[128:129], v[128:129], s[20:21], -v[134:135]
	v_add_f64 v[122:123], v[188:189], v[122:123]
	v_add_f64 v[126:127], v[200:201], v[126:127]
	;; [unrolled: 1-line block ×27, first 2 shown]
	v_cndmask_b32_e64 v10, 0, 0x1210, s1
	v_lshlrev_b32_e32 v11, 3, v113
	v_add_f64 v[6:7], v[6:7], v[103:104]
	ds_load_b64 v[113:114], v118
	s_waitcnt lgkmcnt(0)
	v_add_nc_u32_e32 v10, 0, v10
	s_barrier
	buffer_gl0_inv
	v_add3_u32 v67, v10, v11, v119
	s_delay_alu instid0(VALU_DEP_1)
	v_add_nc_u32_e32 v10, 0x800, v67
	v_add_f64 v[6:7], v[6:7], v[92:93]
	ds_store_2addr_b64 v67, v[14:15], v[18:19] offset0:68 offset1:102
	ds_store_2addr_b64 v67, v[22:23], v[24:25] offset0:136 offset1:170
	;; [unrolled: 1-line block ×7, first 2 shown]
	ds_store_b64 v67, v[68:69] offset:4352
	ds_store_2addr_b64 v67, v[6:7], v[12:13] offset1:34
	s_waitcnt lgkmcnt(0)
	s_barrier
	buffer_gl0_inv
	ds_load_2addr_b64 v[0:3], v71 offset0:92 offset1:194
	ds_load_2addr_b64 v[4:7], v117 offset0:68 offset1:136
	;; [unrolled: 1-line block ×7, first 2 shown]
	ds_load_b64 v[70:71], v118
	ds_load_b64 v[107:108], v117 offset:8432
	s_and_saveexec_b32 s1, s0
	s_cbranch_execz .LBB0_20
; %bb.19:
	ds_load_b64 v[68:69], v117 offset:4352
	ds_load_b64 v[76:77], v117 offset:8976
.LBB0_20:
	s_or_b32 exec_lo, exec_lo, s1
	v_add_f64 v[115:116], v[113:114], v[88:89]
	v_add_f64 v[88:89], v[88:89], v[34:35]
	v_add_f64 v[52:53], v[52:53], -v[92:93]
	v_add_f64 v[48:49], v[48:49], -v[84:85]
	;; [unrolled: 1-line block ×7, first 2 shown]
	v_add_f64 v[78:79], v[44:45], v[42:43]
	v_add_f64 v[54:55], v[54:55], -v[103:104]
	v_add_f64 v[103:104], v[80:81], v[28:29]
	s_waitcnt lgkmcnt(0)
	s_barrier
	buffer_gl0_inv
	v_add_f64 v[115:116], v[115:116], v[111:112]
	v_add_f64 v[111:112], v[111:112], v[30:31]
	v_mul_f64 v[84:85], v[88:89], s[22:23]
	v_mul_f64 v[92:93], v[88:89], s[16:17]
	;; [unrolled: 1-line block ×8, first 2 shown]
	v_add_f64 v[115:116], v[115:116], v[109:110]
	v_add_f64 v[109:110], v[109:110], v[36:37]
	v_mul_f64 v[121:122], v[111:112], s[16:17]
	v_mul_f64 v[123:124], v[111:112], s[20:21]
	;; [unrolled: 1-line block ×6, first 2 shown]
	v_fma_f64 v[165:166], v[52:53], s[50:51], v[84:85]
	v_fma_f64 v[167:168], v[52:53], s[46:47], v[92:93]
	;; [unrolled: 1-line block ×16, first 2 shown]
	v_add_f64 v[115:116], v[115:116], v[94:95]
	v_add_f64 v[94:95], v[94:95], v[32:33]
	v_mul_f64 v[133:134], v[109:110], s[18:19]
	v_mul_f64 v[135:136], v[109:110], s[34:35]
	;; [unrolled: 1-line block ×8, first 2 shown]
	v_fma_f64 v[187:188], v[54:55], s[46:47], v[121:122]
	v_fma_f64 v[121:122], v[54:55], s[6:7], v[121:122]
	;; [unrolled: 1-line block ×12, first 2 shown]
	v_add_f64 v[92:93], v[113:114], v[92:93]
	v_add_f64 v[101:102], v[113:114], v[101:102]
	v_add_f64 v[119:120], v[113:114], v[119:120]
	v_add_f64 v[88:89], v[113:114], v[88:89]
	v_add_f64 v[90:91], v[113:114], v[90:91]
	v_add_f64 v[105:106], v[113:114], v[105:106]
	v_add_f64 v[50:51], v[113:114], v[50:51]
	v_add_f64 v[52:53], v[113:114], v[52:53]
	v_add_f64 v[115:116], v[115:116], v[82:83]
	v_add_f64 v[82:83], v[82:83], v[38:39]
	v_mul_f64 v[147:148], v[94:95], s[20:21]
	v_mul_f64 v[149:150], v[94:95], s[54:55]
	;; [unrolled: 1-line block ×8, first 2 shown]
	v_fma_f64 v[205:206], v[59:60], s[40:41], v[133:134]
	v_fma_f64 v[133:134], v[59:60], s[10:11], v[133:134]
	;; [unrolled: 1-line block ×16, first 2 shown]
	v_add_f64 v[92:93], v[123:124], v[92:93]
	v_add_f64 v[101:102], v[127:128], v[101:102]
	;; [unrolled: 1-line block ×4, first 2 shown]
	v_mul_f64 v[125:126], v[78:79], s[36:37]
	v_add_f64 v[115:116], v[115:116], v[74:75]
	v_add_f64 v[74:75], v[74:75], v[40:41]
	v_mul_f64 v[161:162], v[82:83], s[30:31]
	v_mul_f64 v[163:164], v[82:83], s[36:37]
	v_mul_f64 v[84:85], v[82:83], s[18:19]
	v_mul_f64 v[181:182], v[82:83], s[54:55]
	v_mul_f64 v[183:184], v[82:83], s[20:21]
	v_mul_f64 v[185:186], v[82:83], s[22:23]
	v_add_f64 v[92:93], v[135:136], v[92:93]
	v_add_f64 v[101:102], v[139:140], v[101:102]
	;; [unrolled: 1-line block ×4, first 2 shown]
	v_mul_f64 v[133:134], v[78:79], s[34:35]
	v_mul_f64 v[137:138], v[78:79], s[22:23]
	v_add_f64 v[44:45], v[115:116], v[44:45]
	v_mul_f64 v[115:116], v[111:112], s[30:31]
	v_mul_f64 v[111:112], v[111:112], s[22:23]
	;; [unrolled: 1-line block ×4, first 2 shown]
	v_add_f64 v[44:45], v[44:45], v[80:81]
	v_fma_f64 v[197:198], v[54:55], s[14:15], v[115:116]
	v_fma_f64 v[115:116], v[54:55], s[38:39], v[115:116]
	;; [unrolled: 1-line block ×4, first 2 shown]
	v_add_f64 v[111:112], v[113:114], v[165:166]
	v_add_f64 v[165:166], v[113:114], v[167:168]
	;; [unrolled: 1-line block ×8, first 2 shown]
	v_mul_f64 v[80:81], v[82:83], s[16:17]
	v_mul_f64 v[113:114], v[74:75], s[30:31]
	;; [unrolled: 1-line block ×3, first 2 shown]
	v_add_f64 v[28:29], v[44:45], v[28:29]
	v_mul_f64 v[44:45], v[82:83], s[34:35]
	v_add_f64 v[115:116], v[115:116], v[119:120]
	v_mul_f64 v[82:83], v[74:75], s[34:35]
	v_add_f64 v[54:55], v[54:55], v[88:89]
	v_add_f64 v[109:110], v[187:188], v[111:112]
	;; [unrolled: 1-line block ×11, first 2 shown]
	v_fma_f64 v[129:130], v[61:62], s[42:43], v[147:148]
	v_fma_f64 v[131:132], v[61:62], s[12:13], v[147:148]
	;; [unrolled: 1-line block ×16, first 2 shown]
	v_mul_f64 v[105:106], v[74:75], s[16:17]
	v_fma_f64 v[191:192], v[48:49], s[12:13], v[183:184]
	v_fma_f64 v[183:184], v[48:49], s[42:43], v[183:184]
	;; [unrolled: 1-line block ×4, first 2 shown]
	v_add_f64 v[28:29], v[28:29], v[42:43]
	v_mul_f64 v[42:43], v[74:75], s[20:21]
	v_add_f64 v[115:116], v[143:144], v[115:116]
	v_mul_f64 v[74:75], v[74:75], s[18:19]
	v_add_f64 v[54:55], v[59:60], v[54:55]
	v_add_f64 v[94:95], v[205:206], v[109:110]
	v_add_f64 v[109:110], v[207:208], v[111:112]
	v_add_f64 v[111:112], v[209:210], v[123:124]
	v_add_f64 v[123:124], v[211:212], v[165:166]
	v_add_f64 v[127:128], v[213:214], v[127:128]
	v_add_f64 v[135:136], v[215:216], v[167:168]
	v_add_f64 v[119:120], v[217:218], v[119:120]
	v_add_f64 v[139:140], v[219:220], v[169:170]
	v_add_f64 v[59:60], v[145:146], v[88:89]
	v_add_f64 v[88:89], v[141:142], v[90:91]
	v_fma_f64 v[143:144], v[48:49], s[38:39], v[161:162]
	v_fma_f64 v[145:146], v[48:49], s[14:15], v[161:162]
	;; [unrolled: 1-line block ×12, first 2 shown]
	v_add_f64 v[92:93], v[149:150], v[92:93]
	v_add_f64 v[101:102], v[153:154], v[101:102]
	;; [unrolled: 1-line block ×4, first 2 shown]
	v_mul_f64 v[90:91], v[78:79], s[20:21]
	v_mul_f64 v[141:142], v[78:79], s[54:55]
	v_fma_f64 v[149:150], v[72:73], s[50:51], v[179:180]
	v_fma_f64 v[151:152], v[72:73], s[2:3], v[179:180]
	;; [unrolled: 1-line block ×3, first 2 shown]
	v_mul_f64 v[131:132], v[103:104], s[22:23]
	v_add_f64 v[28:29], v[28:29], v[40:41]
	v_mul_f64 v[40:41], v[78:79], s[18:19]
	v_add_f64 v[115:116], v[157:158], v[115:116]
	v_fma_f64 v[157:158], v[72:73], s[12:13], v[42:43]
	v_add_f64 v[54:55], v[61:62], v[54:55]
	v_add_f64 v[48:49], v[129:130], v[94:95]
	;; [unrolled: 1-line block ×11, first 2 shown]
	v_fma_f64 v[139:140], v[72:73], s[48:49], v[82:83]
	v_fma_f64 v[82:83], v[72:73], s[24:25], v[82:83]
	;; [unrolled: 1-line block ×12, first 2 shown]
	v_add_f64 v[92:93], v[163:164], v[92:93]
	v_add_f64 v[84:85], v[84:85], v[101:102]
	;; [unrolled: 1-line block ×4, first 2 shown]
	v_mul_f64 v[88:89], v[103:104], s[54:55]
	v_mul_f64 v[135:136], v[103:104], s[36:37]
	v_fma_f64 v[145:146], v[46:47], s[42:43], v[90:91]
	v_fma_f64 v[90:91], v[46:47], s[12:13], v[90:91]
	;; [unrolled: 1-line block ×4, first 2 shown]
	v_mul_f64 v[80:81], v[103:104], s[18:19]
	v_add_f64 v[28:29], v[28:29], v[38:39]
	v_mul_f64 v[38:39], v[78:79], s[16:17]
	v_mul_f64 v[78:79], v[78:79], s[30:31]
	v_add_f64 v[115:116], v[183:184], v[115:116]
	v_add_f64 v[44:45], v[44:45], v[54:55]
	;; [unrolled: 1-line block ×12, first 2 shown]
	v_fma_f64 v[129:130], v[46:47], s[44:45], v[125:126]
	v_fma_f64 v[125:126], v[46:47], s[26:27], v[125:126]
	;; [unrolled: 1-line block ×8, first 2 shown]
	v_mul_f64 v[61:62], v[103:104], s[34:35]
	v_mul_f64 v[127:128], v[103:104], s[30:31]
	v_add_f64 v[84:85], v[155:156], v[84:85]
	v_add_f64 v[50:51], v[151:152], v[50:51]
	;; [unrolled: 1-line block ×3, first 2 shown]
	v_fma_f64 v[82:83], v[86:87], s[50:51], v[131:132]
	v_add_f64 v[28:29], v[28:29], v[32:33]
	v_fma_f64 v[167:168], v[46:47], s[6:7], v[38:39]
	v_fma_f64 v[38:39], v[46:47], s[46:47], v[38:39]
	;; [unrolled: 1-line block ×4, first 2 shown]
	v_add_f64 v[48:49], v[139:140], v[48:49]
	v_add_f64 v[74:75], v[147:148], v[74:75]
	;; [unrolled: 1-line block ×4, first 2 shown]
	v_mul_f64 v[32:33], v[103:104], s[16:17]
	v_add_f64 v[94:95], v[153:154], v[109:110]
	v_add_f64 v[101:102], v[157:158], v[101:102]
	v_mul_f64 v[103:104], v[103:104], s[20:21]
	v_add_f64 v[109:110], v[159:160], v[111:112]
	v_add_f64 v[105:106], v[105:106], v[115:116]
	;; [unrolled: 1-line block ×7, first 2 shown]
	v_fma_f64 v[59:60], v[86:87], s[28:29], v[88:89]
	v_fma_f64 v[72:73], v[86:87], s[2:3], v[131:132]
	v_fma_f64 v[115:116], v[86:87], s[26:27], v[135:136]
	v_fma_f64 v[121:122], v[86:87], s[48:49], v[61:62]
	v_fma_f64 v[61:62], v[86:87], s[24:25], v[61:62]
	v_fma_f64 v[123:124], v[86:87], s[10:11], v[80:81]
	v_fma_f64 v[80:81], v[86:87], s[40:41], v[80:81]
	v_fma_f64 v[131:132], v[86:87], s[38:39], v[127:128]
	v_fma_f64 v[127:128], v[86:87], s[14:15], v[127:128]
	v_add_f64 v[84:85], v[133:134], v[84:85]
	v_add_f64 v[28:29], v[28:29], v[36:37]
	v_fma_f64 v[36:37], v[86:87], s[52:53], v[88:89]
	v_fma_f64 v[88:89], v[86:87], s[44:45], v[135:136]
	v_add_f64 v[48:49], v[129:130], v[48:49]
	v_add_f64 v[74:75], v[143:144], v[74:75]
	;; [unrolled: 1-line block ×4, first 2 shown]
	v_fma_f64 v[119:120], v[86:87], s[6:7], v[32:33]
	v_add_f64 v[92:93], v[161:162], v[94:95]
	v_add_f64 v[94:95], v[163:164], v[101:102]
	v_fma_f64 v[32:33], v[86:87], s[46:47], v[32:33]
	v_fma_f64 v[135:136], v[86:87], s[12:13], v[103:104]
	;; [unrolled: 1-line block ×3, first 2 shown]
	v_add_f64 v[101:102], v[165:166], v[109:110]
	v_add_f64 v[103:104], v[141:142], v[105:106]
	v_add_f64 v[105:106], v[167:168], v[111:112]
	v_add_f64 v[109:110], v[169:170], v[113:114]
	v_add_f64 v[44:45], v[46:47], v[44:45]
	v_add_f64 v[38:39], v[38:39], v[54:55]
	v_add_f64 v[42:43], v[137:138], v[42:43]
	v_add_f64 v[46:47], v[90:91], v[50:51]
	v_add_f64 v[50:51], v[125:126], v[52:53]
	v_add_f64 v[28:29], v[28:29], v[30:31]
	v_add_f64 v[30:31], v[36:37], v[48:49]
	v_add_f64 v[36:37], v[72:73], v[74:75]
	v_add_f64 v[40:41], v[82:83], v[40:41]
	v_add_f64 v[48:49], v[88:89], v[78:79]
	v_add_f64 v[52:53], v[119:120], v[92:93]
	v_add_f64 v[54:55], v[121:122], v[94:95]
	v_add_f64 v[32:33], v[32:33], v[84:85]
	v_add_f64 v[72:73], v[123:124], v[101:102]
	v_add_f64 v[74:75], v[80:81], v[103:104]
	v_add_f64 v[78:79], v[131:132], v[105:106]
	v_add_f64 v[80:81], v[135:136], v[109:110]
	v_add_f64 v[44:45], v[86:87], v[44:45]
	v_add_f64 v[38:39], v[127:128], v[38:39]
	v_add_f64 v[42:43], v[61:62], v[42:43]
	v_add_f64 v[46:47], v[115:116], v[46:47]
	v_add_f64 v[60:61], v[59:60], v[50:51]
	v_add_nc_u32_e32 v50, 0x1000, v117
	v_add_nc_u32_e32 v51, 0x400, v117
	;; [unrolled: 1-line block ×4, first 2 shown]
	v_add_f64 v[28:29], v[28:29], v[34:35]
	v_add_nc_u32_e32 v35, 0xc00, v117
	v_add_nc_u32_e32 v34, 0x800, v67
	ds_store_2addr_b64 v67, v[36:37], v[48:49] offset0:68 offset1:102
	ds_store_2addr_b64 v67, v[52:53], v[54:55] offset0:136 offset1:170
	ds_store_2addr_b64 v67, v[72:73], v[78:79] offset0:204 offset1:238
	ds_store_2addr_b64 v34, v[80:81], v[44:45] offset0:16 offset1:50
	ds_store_2addr_b64 v34, v[38:39], v[74:75] offset0:84 offset1:118
	ds_store_2addr_b64 v34, v[42:43], v[32:33] offset0:152 offset1:186
	ds_store_2addr_b64 v34, v[46:47], v[40:41] offset0:220 offset1:254
	ds_store_b64 v67, v[60:61] offset:4352
	ds_store_2addr_b64 v67, v[28:29], v[30:31] offset1:34
	s_waitcnt lgkmcnt(0)
	s_barrier
	buffer_gl0_inv
	ds_load_2addr_b64 v[36:39], v35 offset0:92 offset1:194
	ds_load_2addr_b64 v[28:31], v117 offset0:68 offset1:136
	;; [unrolled: 1-line block ×7, first 2 shown]
	ds_load_b64 v[62:63], v118
	ds_load_b64 v[72:73], v117 offset:8432
	s_and_saveexec_b32 s1, s0
	s_cbranch_execz .LBB0_22
; %bb.21:
	ds_load_b64 v[60:61], v117 offset:4352
	ds_load_b64 v[56:57], v117 offset:8976
	v_mov_b32_e32 v58, v65
.LBB0_22:
	s_or_b32 exec_lo, exec_lo, s1
	s_and_saveexec_b32 s1, vcc_lo
	s_cbranch_execz .LBB0_25
; %bb.23:
	v_mov_b32_e32 v65, 0
	s_delay_alu instid0(VALU_DEP_1) | instskip(SKIP_2) | instid1(VALU_DEP_3)
	v_mov_b32_e32 v67, v65
	v_lshlrev_b64 v[74:75], 4, v[64:65]
	v_mov_b32_e32 v101, v65
	v_lshlrev_b64 v[78:79], 4, v[66:67]
	s_delay_alu instid0(VALU_DEP_3) | instskip(NEXT) | instid1(VALU_DEP_4)
	v_add_co_u32 v59, vcc_lo, s4, v74
	v_add_co_ci_u32_e32 v67, vcc_lo, s5, v75, vcc_lo
	s_delay_alu instid0(VALU_DEP_3) | instskip(NEXT) | instid1(VALU_DEP_4)
	v_add_co_u32 v78, vcc_lo, s4, v78
	v_add_co_ci_u32_e32 v79, vcc_lo, s5, v79, vcc_lo
	v_lshlrev_b64 v[80:81], 4, v[100:101]
	v_add_co_u32 v74, vcc_lo, 0x2000, v59
	v_mov_b32_e32 v100, v65
	v_add_co_ci_u32_e32 v75, vcc_lo, 0, v67, vcc_lo
	v_add_co_u32 v82, vcc_lo, 0x2000, v78
	v_add_co_ci_u32_e32 v83, vcc_lo, 0, v79, vcc_lo
	v_add_co_u32 v59, vcc_lo, s4, v80
	v_lshlrev_b64 v[78:79], 4, v[99:100]
	v_mov_b32_e32 v99, v65
	v_add_co_ci_u32_e32 v67, vcc_lo, s5, v81, vcc_lo
	s_delay_alu instid0(VALU_DEP_4) | instskip(NEXT) | instid1(VALU_DEP_3)
	v_add_co_u32 v86, vcc_lo, 0x2000, v59
	v_lshlrev_b64 v[94:95], 4, v[98:99]
	s_delay_alu instid0(VALU_DEP_3) | instskip(SKIP_2) | instid1(VALU_DEP_4)
	v_add_co_ci_u32_e32 v87, vcc_lo, 0, v67, vcc_lo
	v_add_co_u32 v59, vcc_lo, s4, v78
	v_add_co_ci_u32_e32 v67, vcc_lo, s5, v79, vcc_lo
	v_add_co_u32 v78, vcc_lo, s4, v94
	v_add_co_ci_u32_e32 v79, vcc_lo, s5, v95, vcc_lo
	s_delay_alu instid0(VALU_DEP_4) | instskip(NEXT) | instid1(VALU_DEP_4)
	v_add_co_u32 v90, vcc_lo, 0x2000, v59
	v_add_co_ci_u32_e32 v91, vcc_lo, 0, v67, vcc_lo
	s_delay_alu instid0(VALU_DEP_4) | instskip(NEXT) | instid1(VALU_DEP_4)
	v_add_co_u32 v113, vcc_lo, 0x2000, v78
	v_add_co_ci_u32_e32 v114, vcc_lo, 0, v79, vcc_lo
	s_clause 0x7
	global_load_b128 v[78:81], v[74:75], off offset:784
	global_load_b128 v[82:85], v[82:83], off offset:784
	global_load_b128 v[86:89], v[86:87], off offset:784
	global_load_b128 v[90:93], v[90:91], off offset:784
	global_load_b128 v[98:101], v[113:114], off offset:4048
	global_load_b128 v[102:105], v[113:114], off offset:2960
	global_load_b128 v[109:112], v[113:114], off offset:1872
	global_load_b128 v[113:116], v[113:114], off offset:784
	v_mul_hi_u32 v59, 0xe2c4a689, v66
	v_mul_hi_u32 v67, 0xe2c4a689, v64
	s_waitcnt vmcnt(7)
	v_mul_f64 v[74:75], v[107:108], v[80:81]
	s_waitcnt vmcnt(6)
	v_mul_f64 v[117:118], v[26:27], v[84:85]
	;; [unrolled: 2-line block ×8, first 2 shown]
	s_waitcnt lgkmcnt(8)
	v_mul_f64 v[115:116], v[38:39], v[115:116]
	s_waitcnt lgkmcnt(6)
	v_mul_f64 v[111:112], v[44:45], v[111:112]
	v_mul_f64 v[104:105], v[46:47], v[104:105]
	s_waitcnt lgkmcnt(4)
	v_mul_f64 v[100:101], v[48:49], v[100:101]
	;; [unrolled: 3-line block ×4, first 2 shown]
	v_fma_f64 v[72:73], v[72:73], v[78:79], -v[74:75]
	v_fma_f64 v[54:55], v[54:55], v[82:83], -v[117:118]
	;; [unrolled: 1-line block ×8, first 2 shown]
	v_fma_f64 v[2:3], v[2:3], v[113:114], v[115:116]
	v_fma_f64 v[16:17], v[16:17], v[109:110], v[111:112]
	;; [unrolled: 1-line block ×8, first 2 shown]
	v_add_f64 v[20:21], v[36:37], -v[72:73]
	v_add_f64 v[24:25], v[42:43], -v[54:55]
	;; [unrolled: 1-line block ×16, first 2 shown]
	v_lshrrev_b32_e32 v2, 9, v59
	v_add_co_u32 v59, vcc_lo, s8, v96
	v_lshrrev_b32_e32 v3, 9, v67
	v_add_co_ci_u32_e32 v102, vcc_lo, s9, v97, vcc_lo
	s_delay_alu instid0(VALU_DEP_4) | instskip(NEXT) | instid1(VALU_DEP_4)
	v_mad_u32_u24 v16, 0x242, v2, v66
	v_add_co_u32 v2, vcc_lo, v59, v94
	s_delay_alu instid0(VALU_DEP_4) | instskip(NEXT) | instid1(VALU_DEP_4)
	v_mad_u32_u24 v64, 0x242, v3, v64
	v_add_co_ci_u32_e32 v3, vcc_lo, v102, v95, vcc_lo
	v_mov_b32_e32 v17, v65
	s_delay_alu instid0(VALU_DEP_3) | instskip(NEXT) | instid1(VALU_DEP_2)
	v_lshlrev_b64 v[66:67], 4, v[64:65]
	v_lshlrev_b64 v[38:39], 4, v[16:17]
	v_add_co_u32 v16, vcc_lo, 0x2000, v2
	v_add_co_ci_u32_e32 v17, vcc_lo, 0, v3, vcc_lo
	v_fma_f64 v[36:37], v[36:37], 2.0, -v[20:21]
	v_fma_f64 v[42:43], v[42:43], 2.0, -v[24:25]
	v_fma_f64 v[88:89], v[40:41], 2.0, -v[46:47]
	v_fma_f64 v[92:93], v[34:35], 2.0, -v[50:51]
	v_fma_f64 v[32:33], v[32:33], 2.0, -v[54:55]
	v_fma_f64 v[96:97], v[30:31], 2.0, -v[74:75]
	v_fma_f64 v[28:29], v[28:29], 2.0, -v[80:81]
	v_fma_f64 v[100:101], v[62:63], 2.0, -v[84:85]
	v_fma_f64 v[98:99], v[70:71], 2.0, -v[82:83]
	v_fma_f64 v[26:27], v[4:5], 2.0, -v[78:79]
	v_fma_f64 v[94:95], v[6:7], 2.0, -v[72:73]
	v_fma_f64 v[30:31], v[8:9], 2.0, -v[52:53]
	v_fma_f64 v[90:91], v[10:11], 2.0, -v[48:49]
	v_fma_f64 v[86:87], v[12:13], 2.0, -v[44:45]
	v_fma_f64 v[40:41], v[14:15], 2.0, -v[22:23]
	v_fma_f64 v[34:35], v[0:1], 2.0, -v[18:19]
	v_add_co_u32 v0, vcc_lo, 0x3000, v2
	v_add_co_ci_u32_e32 v1, vcc_lo, 0, v3, vcc_lo
	v_add_co_u32 v4, vcc_lo, 0x1000, v2
	v_add_co_ci_u32_e32 v5, vcc_lo, 0, v3, vcc_lo
	;; [unrolled: 2-line block ×4, first 2 shown]
	s_delay_alu instid0(VALU_DEP_4) | instskip(NEXT) | instid1(VALU_DEP_4)
	v_add_co_u32 v10, vcc_lo, 0x2000, v6
	v_add_co_ci_u32_e32 v11, vcc_lo, 0, v7, vcc_lo
	s_delay_alu instid0(VALU_DEP_4) | instskip(NEXT) | instid1(VALU_DEP_4)
	v_add_co_u32 v12, vcc_lo, 0x2000, v8
	v_add_co_ci_u32_e32 v13, vcc_lo, 0, v9, vcc_lo
	s_clause 0xf
	global_store_b128 v[16:17], v[82:85], off offset:1056
	global_store_b128 v[16:17], v[78:81], off offset:2144
	global_store_b128 v[16:17], v[72:75], off offset:3232
	global_store_b128 v[0:1], v[52:55], off offset:224
	global_store_b128 v[0:1], v[48:51], off offset:1312
	global_store_b128 v[0:1], v[44:47], off offset:2400
	global_store_b128 v[2:3], v[98:101], off
	global_store_b128 v[2:3], v[26:29], off offset:1088
	global_store_b128 v[2:3], v[94:97], off offset:2176
	global_store_b128 v[2:3], v[30:33], off offset:3264
	global_store_b128 v[4:5], v[90:93], off offset:256
	global_store_b128 v[4:5], v[86:89], off offset:1344
	global_store_b128 v[6:7], v[40:43], off
	global_store_b128 v[10:11], v[22:25], off offset:1056
	global_store_b128 v[8:9], v[34:37], off
	global_store_b128 v[12:13], v[18:21], off offset:1056
	s_and_b32 exec_lo, exec_lo, s0
	s_cbranch_execz .LBB0_25
; %bb.24:
	v_mov_b32_e32 v59, v65
	s_delay_alu instid0(VALU_DEP_1) | instskip(NEXT) | instid1(VALU_DEP_1)
	v_lshlrev_b64 v[0:1], 4, v[58:59]
	v_add_co_u32 v0, vcc_lo, s4, v0
	s_delay_alu instid0(VALU_DEP_2) | instskip(NEXT) | instid1(VALU_DEP_2)
	v_add_co_ci_u32_e32 v1, vcc_lo, s5, v1, vcc_lo
	v_add_co_u32 v0, vcc_lo, 0x2000, v0
	s_delay_alu instid0(VALU_DEP_2) | instskip(SKIP_4) | instid1(VALU_DEP_2)
	v_add_co_ci_u32_e32 v1, vcc_lo, 0, v1, vcc_lo
	global_load_b128 v[4:7], v[0:1], off offset:784
	s_waitcnt vmcnt(0)
	v_mul_f64 v[0:1], v[56:57], v[6:7]
	v_mul_f64 v[6:7], v[76:77], v[6:7]
	v_fma_f64 v[0:1], v[76:77], v[4:5], v[0:1]
	s_delay_alu instid0(VALU_DEP_2) | instskip(NEXT) | instid1(VALU_DEP_2)
	v_fma_f64 v[6:7], v[56:57], v[4:5], -v[6:7]
	v_add_f64 v[4:5], v[68:69], -v[0:1]
	s_delay_alu instid0(VALU_DEP_2) | instskip(SKIP_2) | instid1(VALU_DEP_4)
	v_add_f64 v[6:7], v[60:61], -v[6:7]
	v_add_co_u32 v0, vcc_lo, 0x4000, v2
	v_add_co_ci_u32_e32 v1, vcc_lo, 0, v3, vcc_lo
	v_fma_f64 v[8:9], v[68:69], 2.0, -v[4:5]
	s_delay_alu instid0(VALU_DEP_4)
	v_fma_f64 v[10:11], v[60:61], 2.0, -v[6:7]
	s_clause 0x1
	global_store_b128 v[16:17], v[8:11], off offset:512
	global_store_b128 v[0:1], v[4:7], off offset:1568
.LBB0_25:
	s_nop 0
	s_sendmsg sendmsg(MSG_DEALLOC_VGPRS)
	s_endpgm
	.section	.rodata,"a",@progbits
	.p2align	6, 0x0
	.amdhsa_kernel fft_rtc_back_len1156_factors_17_2_17_2_wgs_204_tpt_68_halfLds_dp_ip_CI_unitstride_sbrr_dirReg
		.amdhsa_group_segment_fixed_size 0
		.amdhsa_private_segment_fixed_size 0
		.amdhsa_kernarg_size 88
		.amdhsa_user_sgpr_count 15
		.amdhsa_user_sgpr_dispatch_ptr 0
		.amdhsa_user_sgpr_queue_ptr 0
		.amdhsa_user_sgpr_kernarg_segment_ptr 1
		.amdhsa_user_sgpr_dispatch_id 0
		.amdhsa_user_sgpr_private_segment_size 0
		.amdhsa_wavefront_size32 1
		.amdhsa_uses_dynamic_stack 0
		.amdhsa_enable_private_segment 0
		.amdhsa_system_sgpr_workgroup_id_x 1
		.amdhsa_system_sgpr_workgroup_id_y 0
		.amdhsa_system_sgpr_workgroup_id_z 0
		.amdhsa_system_sgpr_workgroup_info 0
		.amdhsa_system_vgpr_workitem_id 0
		.amdhsa_next_free_vgpr 244
		.amdhsa_next_free_sgpr 56
		.amdhsa_reserve_vcc 1
		.amdhsa_float_round_mode_32 0
		.amdhsa_float_round_mode_16_64 0
		.amdhsa_float_denorm_mode_32 3
		.amdhsa_float_denorm_mode_16_64 3
		.amdhsa_dx10_clamp 1
		.amdhsa_ieee_mode 1
		.amdhsa_fp16_overflow 0
		.amdhsa_workgroup_processor_mode 1
		.amdhsa_memory_ordered 1
		.amdhsa_forward_progress 0
		.amdhsa_shared_vgpr_count 0
		.amdhsa_exception_fp_ieee_invalid_op 0
		.amdhsa_exception_fp_denorm_src 0
		.amdhsa_exception_fp_ieee_div_zero 0
		.amdhsa_exception_fp_ieee_overflow 0
		.amdhsa_exception_fp_ieee_underflow 0
		.amdhsa_exception_fp_ieee_inexact 0
		.amdhsa_exception_int_div_zero 0
	.end_amdhsa_kernel
	.text
.Lfunc_end0:
	.size	fft_rtc_back_len1156_factors_17_2_17_2_wgs_204_tpt_68_halfLds_dp_ip_CI_unitstride_sbrr_dirReg, .Lfunc_end0-fft_rtc_back_len1156_factors_17_2_17_2_wgs_204_tpt_68_halfLds_dp_ip_CI_unitstride_sbrr_dirReg
                                        ; -- End function
	.section	.AMDGPU.csdata,"",@progbits
; Kernel info:
; codeLenInByte = 18752
; NumSgprs: 58
; NumVgprs: 244
; ScratchSize: 0
; MemoryBound: 1
; FloatMode: 240
; IeeeMode: 1
; LDSByteSize: 0 bytes/workgroup (compile time only)
; SGPRBlocks: 7
; VGPRBlocks: 30
; NumSGPRsForWavesPerEU: 58
; NumVGPRsForWavesPerEU: 244
; Occupancy: 5
; WaveLimiterHint : 1
; COMPUTE_PGM_RSRC2:SCRATCH_EN: 0
; COMPUTE_PGM_RSRC2:USER_SGPR: 15
; COMPUTE_PGM_RSRC2:TRAP_HANDLER: 0
; COMPUTE_PGM_RSRC2:TGID_X_EN: 1
; COMPUTE_PGM_RSRC2:TGID_Y_EN: 0
; COMPUTE_PGM_RSRC2:TGID_Z_EN: 0
; COMPUTE_PGM_RSRC2:TIDIG_COMP_CNT: 0
	.text
	.p2alignl 7, 3214868480
	.fill 96, 4, 3214868480
	.type	__hip_cuid_cccf0b30b82e76db,@object ; @__hip_cuid_cccf0b30b82e76db
	.section	.bss,"aw",@nobits
	.globl	__hip_cuid_cccf0b30b82e76db
__hip_cuid_cccf0b30b82e76db:
	.byte	0                               ; 0x0
	.size	__hip_cuid_cccf0b30b82e76db, 1

	.ident	"AMD clang version 19.0.0git (https://github.com/RadeonOpenCompute/llvm-project roc-6.4.0 25133 c7fe45cf4b819c5991fe208aaa96edf142730f1d)"
	.section	".note.GNU-stack","",@progbits
	.addrsig
	.addrsig_sym __hip_cuid_cccf0b30b82e76db
	.amdgpu_metadata
---
amdhsa.kernels:
  - .args:
      - .actual_access:  read_only
        .address_space:  global
        .offset:         0
        .size:           8
        .value_kind:     global_buffer
      - .offset:         8
        .size:           8
        .value_kind:     by_value
      - .actual_access:  read_only
        .address_space:  global
        .offset:         16
        .size:           8
        .value_kind:     global_buffer
      - .actual_access:  read_only
        .address_space:  global
        .offset:         24
        .size:           8
        .value_kind:     global_buffer
      - .offset:         32
        .size:           8
        .value_kind:     by_value
      - .actual_access:  read_only
        .address_space:  global
        .offset:         40
        .size:           8
        .value_kind:     global_buffer
      - .actual_access:  read_only
        .address_space:  global
        .offset:         48
        .size:           8
        .value_kind:     global_buffer
      - .offset:         56
        .size:           4
        .value_kind:     by_value
      - .actual_access:  read_only
        .address_space:  global
        .offset:         64
        .size:           8
        .value_kind:     global_buffer
      - .actual_access:  read_only
        .address_space:  global
        .offset:         72
        .size:           8
        .value_kind:     global_buffer
      - .address_space:  global
        .offset:         80
        .size:           8
        .value_kind:     global_buffer
    .group_segment_fixed_size: 0
    .kernarg_segment_align: 8
    .kernarg_segment_size: 88
    .language:       OpenCL C
    .language_version:
      - 2
      - 0
    .max_flat_workgroup_size: 204
    .name:           fft_rtc_back_len1156_factors_17_2_17_2_wgs_204_tpt_68_halfLds_dp_ip_CI_unitstride_sbrr_dirReg
    .private_segment_fixed_size: 0
    .sgpr_count:     58
    .sgpr_spill_count: 0
    .symbol:         fft_rtc_back_len1156_factors_17_2_17_2_wgs_204_tpt_68_halfLds_dp_ip_CI_unitstride_sbrr_dirReg.kd
    .uniform_work_group_size: 1
    .uses_dynamic_stack: false
    .vgpr_count:     244
    .vgpr_spill_count: 0
    .wavefront_size: 32
    .workgroup_processor_mode: 1
amdhsa.target:   amdgcn-amd-amdhsa--gfx1100
amdhsa.version:
  - 1
  - 2
...

	.end_amdgpu_metadata
